;; amdgpu-corpus repo=ROCm/rocSOLVER kind=compiled arch=gfx90a opt=O3
	.text
	.amdgcn_target "amdgcn-amd-amdhsa--gfx90a"
	.amdhsa_code_object_version 6
	.section	.text._ZN9rocsolver6v33100L18larfg_kernel_smallILi64EfifPfEEvT1_T3_llPT2_llS4_lS3_lPT0_l,"axG",@progbits,_ZN9rocsolver6v33100L18larfg_kernel_smallILi64EfifPfEEvT1_T3_llPT2_llS4_lS3_lPT0_l,comdat
	.globl	_ZN9rocsolver6v33100L18larfg_kernel_smallILi64EfifPfEEvT1_T3_llPT2_llS4_lS3_lPT0_l ; -- Begin function _ZN9rocsolver6v33100L18larfg_kernel_smallILi64EfifPfEEvT1_T3_llPT2_llS4_lS3_lPT0_l
	.p2align	8
	.type	_ZN9rocsolver6v33100L18larfg_kernel_smallILi64EfifPfEEvT1_T3_llPT2_llS4_lS3_lPT0_l,@function
_ZN9rocsolver6v33100L18larfg_kernel_smallILi64EfifPfEEvT1_T3_llPT2_llS4_lS3_lPT0_l: ; @_ZN9rocsolver6v33100L18larfg_kernel_smallILi64EfifPfEEvT1_T3_llPT2_llS4_lS3_lPT0_l
; %bb.0:
	s_load_dwordx16 s[8:23], s[4:5], 0x8
	s_ashr_i32 s6, s7, 31
	s_mov_b64 s[24:25], 0
	s_waitcnt lgkmcnt(0)
	s_cmp_eq_u64 s[14:15], 0
	s_cbranch_scc1 .LBB0_2
; %bb.1:
	s_mul_i32 s0, s7, s19
	s_mul_hi_u32 s1, s7, s18
	s_add_i32 s0, s1, s0
	s_mul_i32 s1, s6, s18
	s_add_i32 s1, s0, s1
	s_mul_i32 s0, s7, s18
	s_lshl_b64 s[0:1], s[0:1], 2
	s_add_u32 s2, s14, s0
	s_addc_u32 s3, s15, s1
	s_lshl_b64 s[0:1], s[16:17], 2
	s_add_u32 s24, s2, s0
	s_addc_u32 s25, s3, s1
.LBB0_2:
	s_load_dwordx4 s[0:3], s[4:5], 0x50
	s_load_dword s19, s[4:5], 0x0
	s_load_dword s26, s[4:5], 0x48
	s_load_dwordx2 s[14:15], s[4:5], 0x60
	v_mov_b32_e32 v1, 0
	s_waitcnt lgkmcnt(0)
	s_mul_i32 s1, s7, s1
	s_mul_hi_u32 s4, s7, s0
	s_add_i32 s1, s4, s1
	s_mul_i32 s4, s6, s0
	s_add_i32 s1, s1, s4
	s_mul_i32 s0, s7, s0
	s_lshl_b64 s[0:1], s[0:1], 2
	s_add_u32 s4, s20, s0
	s_addc_u32 s5, s21, s1
	s_lshl_b64 s[0:1], s[22:23], 2
	s_add_u32 s18, s4, s0
	s_addc_u32 s20, s5, s1
	s_add_i32 s19, s19, -1
	v_cmp_gt_i32_e64 s[0:1], s19, v0
	v_mul_lo_u32 v2, v0, s26
	s_and_saveexec_b64 s[4:5], s[0:1]
	s_cbranch_execz .LBB0_6
; %bb.3:
	v_mul_lo_u32 v4, v0, s26
	s_lshl_b32 s21, s26, 6
	s_mov_b64 s[16:17], 0
	v_mov_b32_e32 v1, 0
	v_mov_b32_e32 v3, s20
	;; [unrolled: 1-line block ×3, first 2 shown]
.LBB0_4:                                ; =>This Inner Loop Header: Depth=1
	v_ashrrev_i32_e32 v5, 31, v4
	v_lshlrev_b64 v[8:9], 2, v[4:5]
	v_add_co_u32_e32 v8, vcc, s18, v8
	v_addc_co_u32_e32 v9, vcc, v3, v9, vcc
	global_load_dword v5, v[8:9], off
	v_add_u32_e32 v6, 64, v6
	v_cmp_le_i32_e32 vcc, s19, v6
	s_or_b64 s[16:17], vcc, s[16:17]
	v_add_u32_e32 v4, s21, v4
	s_waitcnt vmcnt(0)
	v_mul_f32_e32 v5, v5, v5
	v_add_f32_e32 v1, v1, v5
	s_andn2_b64 exec, exec, s[16:17]
	s_cbranch_execnz .LBB0_4
; %bb.5:
	s_or_b64 exec, exec, s[16:17]
.LBB0_6:
	s_or_b64 exec, exec, s[4:5]
	v_mbcnt_lo_u32_b32 v3, -1, 0
	v_mbcnt_hi_u32_b32 v3, -1, v3
	v_and_b32_e32 v4, 63, v3
	v_cmp_ne_u32_e32 vcc, 63, v4
	v_addc_co_u32_e32 v5, vcc, 0, v3, vcc
	v_lshlrev_b32_e32 v5, 2, v5
	ds_bpermute_b32 v5, v5, v1
	v_cmp_gt_u32_e32 vcc, 62, v4
	v_cndmask_b32_e64 v6, 0, 1, vcc
	v_cmp_gt_u32_e32 vcc, 60, v4
	s_waitcnt lgkmcnt(0)
	v_add_f32_e32 v1, v1, v5
	v_lshlrev_b32_e32 v5, 1, v6
	v_add_lshl_u32 v5, v5, v3, 2
	ds_bpermute_b32 v5, v5, v1
	v_cndmask_b32_e64 v6, 0, 1, vcc
	v_cmp_gt_u32_e32 vcc, 56, v4
	s_waitcnt lgkmcnt(0)
	v_add_f32_e32 v1, v1, v5
	v_lshlrev_b32_e32 v5, 2, v6
	v_add_lshl_u32 v5, v5, v3, 2
	ds_bpermute_b32 v5, v5, v1
	;; [unrolled: 7-line block ×3, first 2 shown]
	v_cndmask_b32_e64 v6, 0, 1, vcc
	v_cmp_gt_u32_e32 vcc, 32, v4
	v_cndmask_b32_e64 v4, 0, 1, vcc
	v_lshlrev_b32_e32 v4, 5, v4
	s_waitcnt lgkmcnt(0)
	v_add_f32_e32 v1, v1, v5
	v_lshlrev_b32_e32 v5, 4, v6
	v_add_lshl_u32 v5, v5, v3, 2
	ds_bpermute_b32 v5, v5, v1
	v_add_lshl_u32 v3, v4, v3, 2
	v_cmp_eq_u32_e32 vcc, 0, v0
	s_waitcnt lgkmcnt(0)
	v_add_f32_e32 v1, v1, v5
	ds_bpermute_b32 v3, v3, v1
	s_waitcnt lgkmcnt(0)
	v_add_f32_e32 v1, v1, v3
	s_and_saveexec_b64 s[4:5], vcc
	s_cbranch_execz .LBB0_8
; %bb.7:
	v_mov_b32_e32 v3, 0
	ds_write_b32 v3, v1
.LBB0_8:
	s_or_b64 exec, exec, s[4:5]
	v_cmp_eq_u32_e32 vcc, 0, v0
	s_waitcnt lgkmcnt(0)
	; wave barrier
	s_waitcnt lgkmcnt(0)
	s_and_saveexec_b64 s[4:5], vcc
	s_cbranch_execz .LBB0_10
; %bb.9:
	v_mov_b32_e32 v3, 0
	ds_write_b32 v3, v1
.LBB0_10:
	s_or_b64 exec, exec, s[4:5]
	s_waitcnt lgkmcnt(0)
	; wave barrier
	s_waitcnt lgkmcnt(0)
	s_and_saveexec_b64 s[4:5], vcc
	s_cbranch_execz .LBB0_20
; %bb.11:
	s_mul_i32 s13, s7, s13
	s_mul_hi_u32 s16, s7, s12
	s_add_i32 s13, s16, s13
	s_mul_i32 s16, s6, s12
	s_add_i32 s13, s13, s16
	s_mul_i32 s12, s7, s12
	s_lshl_b64 s[12:13], s[12:13], 2
	s_add_u32 s12, s8, s12
	s_addc_u32 s13, s9, s13
	s_lshl_b64 s[8:9], s[10:11], 2
	s_add_u32 s8, s12, s8
	s_mul_i32 s10, s7, s15
	s_mul_hi_u32 s11, s7, s14
	s_addc_u32 s9, s13, s9
	s_add_i32 s10, s11, s10
	s_mul_i32 s6, s6, s14
	v_mov_b32_e32 v1, 0
	s_add_i32 s11, s10, s6
	s_mul_i32 s10, s7, s14
	ds_read_b32 v3, v1
	s_lshl_b64 s[6:7], s[10:11], 2
	s_add_u32 s6, s2, s6
	s_addc_u32 s7, s3, s7
	s_cmp_eq_u64 s[24:25], 0
	s_cselect_b64 s[2:3], -1, 0
	s_cmp_lg_u64 s[24:25], 0
	s_waitcnt lgkmcnt(0)
	v_cmp_nlt_f32_e32 vcc, 0, v3
	s_mov_b64 s[12:13], 0
	s_cselect_b64 s[10:11], -1, 0
	s_cbranch_vccz .LBB0_14
; %bb.12:
	v_mov_b32_e32 v4, 1.0
	s_mov_b64 s[16:17], 0
	s_and_b64 vcc, exec, s[10:11]
	ds_write_b32 v1, v4
	global_store_dword v1, v1, s[6:7]
	s_cbranch_vccz .LBB0_15
; %bb.13:
	v_mov_b32_e32 v1, 0
	global_load_dword v1, v1, s[8:9]
	s_mov_b64 s[14:15], -1
	s_and_b64 vcc, exec, s[16:17]
	s_cbranch_vccnz .LBB0_16
	s_branch .LBB0_17
.LBB0_14:
	s_mov_b64 s[16:17], -1
.LBB0_15:
	s_mov_b64 s[14:15], 0
                                        ; implicit-def: $vgpr1
	s_and_b64 vcc, exec, s[16:17]
	s_cbranch_vccz .LBB0_17
.LBB0_16:
	v_mov_b32_e32 v4, 0
	global_load_dword v5, v4, s[8:9]
	s_mov_b32 s12, 0xf800000
	v_mov_b32_e32 v6, 0x260
	s_mov_b64 s[14:15], s[10:11]
	s_waitcnt vmcnt(0)
	v_fmac_f32_e32 v3, v5, v5
	v_mul_f32_e32 v1, 0x4f800000, v3
	v_cmp_gt_f32_e32 vcc, s12, v3
	v_cndmask_b32_e32 v1, v3, v1, vcc
	v_sqrt_f32_e32 v3, v1
	s_mov_b64 s[12:13], s[2:3]
	v_add_u32_e32 v7, -1, v3
	v_add_u32_e32 v8, 1, v3
	v_fma_f32 v9, -v7, v3, v1
	v_fma_f32 v10, -v8, v3, v1
	v_cmp_ge_f32_e64 s[2:3], 0, v9
	v_cndmask_b32_e64 v3, v3, v7, s[2:3]
	v_cmp_lt_f32_e64 s[2:3], 0, v10
	v_cndmask_b32_e64 v3, v3, v8, s[2:3]
	v_mul_f32_e32 v7, 0x37800000, v3
	v_cndmask_b32_e32 v3, v3, v7, vcc
	v_cmp_class_f32_e32 vcc, v1, v6
	v_cndmask_b32_e32 v1, v3, v1, vcc
	v_cmp_le_f32_e32 vcc, 0, v5
	v_cndmask_b32_e64 v1, v1, -v1, vcc
	v_sub_f32_e32 v3, v5, v1
	v_sub_f32_e32 v5, v1, v5
	v_div_scale_f32 v6, s[2:3], v3, v3, 1.0
	v_div_scale_f32 v8, s[2:3], v1, v1, v5
	v_rcp_f32_e32 v9, v6
	v_rcp_f32_e32 v10, v8
	v_div_scale_f32 v7, vcc, 1.0, v3, 1.0
	v_fma_f32 v12, -v6, v9, 1.0
	v_fma_f32 v13, -v8, v10, 1.0
	v_fmac_f32_e32 v9, v12, v9
	v_div_scale_f32 v11, s[2:3], v5, v1, v5
	v_fmac_f32_e32 v10, v13, v10
	v_mul_f32_e32 v12, v7, v9
	v_mul_f32_e32 v13, v11, v10
	v_fma_f32 v14, -v6, v12, v7
	v_fma_f32 v15, -v8, v13, v11
	v_fmac_f32_e32 v12, v14, v9
	v_fmac_f32_e32 v13, v15, v10
	v_fma_f32 v6, -v6, v12, v7
	v_fma_f32 v7, -v8, v13, v11
	v_div_fmas_f32 v6, v6, v9, v12
	s_mov_b64 vcc, s[2:3]
	v_div_fixup_f32 v3, v6, v3, 1.0
	v_div_fmas_f32 v6, v7, v10, v13
	ds_write_b32 v4, v3
	v_div_fixup_f32 v3, v6, v1, v5
	global_store_dword v4, v3, s[6:7]
.LBB0_17:
	s_andn2_b64 vcc, exec, s[14:15]
	s_cbranch_vccz .LBB0_24
; %bb.18:
	s_andn2_b64 vcc, exec, s[12:13]
	s_cbranch_vccnz .LBB0_20
.LBB0_19:
	v_mov_b32_e32 v3, 0
	s_waitcnt vmcnt(0)
	global_store_dword v3, v1, s[8:9]
.LBB0_20:
	s_or_b64 exec, exec, s[4:5]
	s_waitcnt lgkmcnt(0)
	; wave barrier
	s_waitcnt lgkmcnt(0)
	s_and_saveexec_b64 s[2:3], s[0:1]
	s_cbranch_execz .LBB0_23
; %bb.21:
	s_waitcnt vmcnt(0)
	v_mov_b32_e32 v1, 0
	ds_read_b32 v1, v1
	s_lshl_b32 s2, s26, 6
	s_mov_b64 s[0:1], 0
	v_mov_b32_e32 v4, s20
.LBB0_22:                               ; =>This Inner Loop Header: Depth=1
	v_ashrrev_i32_e32 v3, 31, v2
	v_lshlrev_b64 v[6:7], 2, v[2:3]
	v_add_co_u32_e32 v6, vcc, s18, v6
	v_addc_co_u32_e32 v7, vcc, v4, v7, vcc
	global_load_dword v3, v[6:7], off
	v_add_u32_e32 v0, 64, v0
	v_cmp_le_i32_e32 vcc, s19, v0
	s_or_b64 s[0:1], vcc, s[0:1]
	v_add_u32_e32 v2, s2, v2
	s_waitcnt vmcnt(0) lgkmcnt(0)
	v_mul_f32_e32 v3, v1, v3
	global_store_dword v[6:7], v3, off
	s_andn2_b64 exec, exec, s[0:1]
	s_cbranch_execnz .LBB0_22
.LBB0_23:
	s_endpgm
.LBB0_24:
	v_pk_mov_b32 v[4:5], s[24:25], s[24:25] op_sel:[0,1]
	s_waitcnt vmcnt(0)
	flat_store_dword v[4:5], v1
	v_mov_b32_e32 v1, 1.0
	s_branch .LBB0_19
	.section	.rodata,"a",@progbits
	.p2align	6, 0x0
	.amdhsa_kernel _ZN9rocsolver6v33100L18larfg_kernel_smallILi64EfifPfEEvT1_T3_llPT2_llS4_lS3_lPT0_l
		.amdhsa_group_segment_fixed_size 4
		.amdhsa_private_segment_fixed_size 0
		.amdhsa_kernarg_size 104
		.amdhsa_user_sgpr_count 6
		.amdhsa_user_sgpr_private_segment_buffer 1
		.amdhsa_user_sgpr_dispatch_ptr 0
		.amdhsa_user_sgpr_queue_ptr 0
		.amdhsa_user_sgpr_kernarg_segment_ptr 1
		.amdhsa_user_sgpr_dispatch_id 0
		.amdhsa_user_sgpr_flat_scratch_init 0
		.amdhsa_user_sgpr_kernarg_preload_length 0
		.amdhsa_user_sgpr_kernarg_preload_offset 0
		.amdhsa_user_sgpr_private_segment_size 0
		.amdhsa_uses_dynamic_stack 0
		.amdhsa_system_sgpr_private_segment_wavefront_offset 0
		.amdhsa_system_sgpr_workgroup_id_x 1
		.amdhsa_system_sgpr_workgroup_id_y 0
		.amdhsa_system_sgpr_workgroup_id_z 1
		.amdhsa_system_sgpr_workgroup_info 0
		.amdhsa_system_vgpr_workitem_id 0
		.amdhsa_next_free_vgpr 16
		.amdhsa_next_free_sgpr 27
		.amdhsa_accum_offset 16
		.amdhsa_reserve_vcc 1
		.amdhsa_reserve_flat_scratch 0
		.amdhsa_float_round_mode_32 0
		.amdhsa_float_round_mode_16_64 0
		.amdhsa_float_denorm_mode_32 3
		.amdhsa_float_denorm_mode_16_64 3
		.amdhsa_dx10_clamp 1
		.amdhsa_ieee_mode 1
		.amdhsa_fp16_overflow 0
		.amdhsa_tg_split 0
		.amdhsa_exception_fp_ieee_invalid_op 0
		.amdhsa_exception_fp_denorm_src 0
		.amdhsa_exception_fp_ieee_div_zero 0
		.amdhsa_exception_fp_ieee_overflow 0
		.amdhsa_exception_fp_ieee_underflow 0
		.amdhsa_exception_fp_ieee_inexact 0
		.amdhsa_exception_int_div_zero 0
	.end_amdhsa_kernel
	.section	.text._ZN9rocsolver6v33100L18larfg_kernel_smallILi64EfifPfEEvT1_T3_llPT2_llS4_lS3_lPT0_l,"axG",@progbits,_ZN9rocsolver6v33100L18larfg_kernel_smallILi64EfifPfEEvT1_T3_llPT2_llS4_lS3_lPT0_l,comdat
.Lfunc_end0:
	.size	_ZN9rocsolver6v33100L18larfg_kernel_smallILi64EfifPfEEvT1_T3_llPT2_llS4_lS3_lPT0_l, .Lfunc_end0-_ZN9rocsolver6v33100L18larfg_kernel_smallILi64EfifPfEEvT1_T3_llPT2_llS4_lS3_lPT0_l
                                        ; -- End function
	.section	.AMDGPU.csdata,"",@progbits
; Kernel info:
; codeLenInByte = 1328
; NumSgprs: 31
; NumVgprs: 16
; NumAgprs: 0
; TotalNumVgprs: 16
; ScratchSize: 0
; MemoryBound: 0
; FloatMode: 240
; IeeeMode: 1
; LDSByteSize: 4 bytes/workgroup (compile time only)
; SGPRBlocks: 3
; VGPRBlocks: 1
; NumSGPRsForWavesPerEU: 31
; NumVGPRsForWavesPerEU: 16
; AccumOffset: 16
; Occupancy: 8
; WaveLimiterHint : 1
; COMPUTE_PGM_RSRC2:SCRATCH_EN: 0
; COMPUTE_PGM_RSRC2:USER_SGPR: 6
; COMPUTE_PGM_RSRC2:TRAP_HANDLER: 0
; COMPUTE_PGM_RSRC2:TGID_X_EN: 1
; COMPUTE_PGM_RSRC2:TGID_Y_EN: 0
; COMPUTE_PGM_RSRC2:TGID_Z_EN: 1
; COMPUTE_PGM_RSRC2:TIDIG_COMP_CNT: 0
; COMPUTE_PGM_RSRC3_GFX90A:ACCUM_OFFSET: 3
; COMPUTE_PGM_RSRC3_GFX90A:TG_SPLIT: 0
	.section	.text._ZN9rocsolver6v33100L18larfg_kernel_smallILi128EfifPfEEvT1_T3_llPT2_llS4_lS3_lPT0_l,"axG",@progbits,_ZN9rocsolver6v33100L18larfg_kernel_smallILi128EfifPfEEvT1_T3_llPT2_llS4_lS3_lPT0_l,comdat
	.globl	_ZN9rocsolver6v33100L18larfg_kernel_smallILi128EfifPfEEvT1_T3_llPT2_llS4_lS3_lPT0_l ; -- Begin function _ZN9rocsolver6v33100L18larfg_kernel_smallILi128EfifPfEEvT1_T3_llPT2_llS4_lS3_lPT0_l
	.p2align	8
	.type	_ZN9rocsolver6v33100L18larfg_kernel_smallILi128EfifPfEEvT1_T3_llPT2_llS4_lS3_lPT0_l,@function
_ZN9rocsolver6v33100L18larfg_kernel_smallILi128EfifPfEEvT1_T3_llPT2_llS4_lS3_lPT0_l: ; @_ZN9rocsolver6v33100L18larfg_kernel_smallILi128EfifPfEEvT1_T3_llPT2_llS4_lS3_lPT0_l
; %bb.0:
	s_load_dwordx16 s[8:23], s[4:5], 0x8
	s_ashr_i32 s6, s7, 31
	s_mov_b64 s[24:25], 0
	s_waitcnt lgkmcnt(0)
	s_cmp_eq_u64 s[14:15], 0
	s_cbranch_scc1 .LBB1_2
; %bb.1:
	s_mul_i32 s0, s7, s19
	s_mul_hi_u32 s1, s7, s18
	s_add_i32 s0, s1, s0
	s_mul_i32 s1, s6, s18
	s_add_i32 s1, s0, s1
	s_mul_i32 s0, s7, s18
	s_lshl_b64 s[0:1], s[0:1], 2
	s_add_u32 s2, s14, s0
	s_addc_u32 s3, s15, s1
	s_lshl_b64 s[0:1], s[16:17], 2
	s_add_u32 s24, s2, s0
	s_addc_u32 s25, s3, s1
.LBB1_2:
	s_load_dwordx4 s[0:3], s[4:5], 0x50
	s_load_dword s19, s[4:5], 0x0
	s_load_dword s26, s[4:5], 0x48
	s_load_dwordx2 s[14:15], s[4:5], 0x60
	v_mov_b32_e32 v1, 0
	s_waitcnt lgkmcnt(0)
	s_mul_i32 s1, s7, s1
	s_mul_hi_u32 s4, s7, s0
	s_add_i32 s1, s4, s1
	s_mul_i32 s4, s6, s0
	s_add_i32 s1, s1, s4
	s_mul_i32 s0, s7, s0
	s_lshl_b64 s[0:1], s[0:1], 2
	s_add_u32 s4, s20, s0
	s_addc_u32 s5, s21, s1
	s_lshl_b64 s[0:1], s[22:23], 2
	s_add_u32 s18, s4, s0
	s_addc_u32 s20, s5, s1
	s_add_i32 s19, s19, -1
	v_cmp_gt_i32_e64 s[0:1], s19, v0
	v_mul_lo_u32 v2, v0, s26
	s_and_saveexec_b64 s[4:5], s[0:1]
	s_cbranch_execz .LBB1_6
; %bb.3:
	v_mul_lo_u32 v4, v0, s26
	s_lshl_b32 s21, s26, 7
	s_mov_b64 s[16:17], 0
	v_mov_b32_e32 v1, 0
	v_mov_b32_e32 v3, s20
	;; [unrolled: 1-line block ×3, first 2 shown]
.LBB1_4:                                ; =>This Inner Loop Header: Depth=1
	v_ashrrev_i32_e32 v5, 31, v4
	v_lshlrev_b64 v[8:9], 2, v[4:5]
	v_add_co_u32_e32 v8, vcc, s18, v8
	v_addc_co_u32_e32 v9, vcc, v3, v9, vcc
	global_load_dword v5, v[8:9], off
	v_add_u32_e32 v6, 0x80, v6
	v_cmp_le_i32_e32 vcc, s19, v6
	s_or_b64 s[16:17], vcc, s[16:17]
	v_add_u32_e32 v4, s21, v4
	s_waitcnt vmcnt(0)
	v_mul_f32_e32 v5, v5, v5
	v_add_f32_e32 v1, v1, v5
	s_andn2_b64 exec, exec, s[16:17]
	s_cbranch_execnz .LBB1_4
; %bb.5:
	s_or_b64 exec, exec, s[16:17]
.LBB1_6:
	s_or_b64 exec, exec, s[4:5]
	v_mbcnt_lo_u32_b32 v3, -1, 0
	v_mbcnt_hi_u32_b32 v3, -1, v3
	v_and_b32_e32 v4, 63, v3
	v_cmp_ne_u32_e32 vcc, 63, v4
	v_addc_co_u32_e32 v5, vcc, 0, v3, vcc
	v_lshlrev_b32_e32 v5, 2, v5
	ds_bpermute_b32 v5, v5, v1
	v_cmp_gt_u32_e32 vcc, 62, v4
	v_cndmask_b32_e64 v6, 0, 1, vcc
	v_cmp_gt_u32_e32 vcc, 60, v4
	s_waitcnt lgkmcnt(0)
	v_add_f32_e32 v1, v1, v5
	v_lshlrev_b32_e32 v5, 1, v6
	v_add_lshl_u32 v5, v5, v3, 2
	ds_bpermute_b32 v5, v5, v1
	v_cndmask_b32_e64 v6, 0, 1, vcc
	v_cmp_gt_u32_e32 vcc, 56, v4
	s_waitcnt lgkmcnt(0)
	v_add_f32_e32 v1, v1, v5
	v_lshlrev_b32_e32 v5, 2, v6
	v_add_lshl_u32 v5, v5, v3, 2
	ds_bpermute_b32 v5, v5, v1
	;; [unrolled: 7-line block ×3, first 2 shown]
	v_cndmask_b32_e64 v6, 0, 1, vcc
	v_cmp_gt_u32_e32 vcc, 32, v4
	v_cndmask_b32_e64 v4, 0, 1, vcc
	v_lshlrev_b32_e32 v4, 5, v4
	s_waitcnt lgkmcnt(0)
	v_add_f32_e32 v1, v1, v5
	v_lshlrev_b32_e32 v5, 4, v6
	v_add_lshl_u32 v5, v5, v3, 2
	ds_bpermute_b32 v5, v5, v1
	v_add_lshl_u32 v3, v4, v3, 2
	v_and_b32_e32 v4, 63, v0
	v_cmp_eq_u32_e32 vcc, 0, v4
	s_waitcnt lgkmcnt(0)
	v_add_f32_e32 v1, v1, v5
	ds_bpermute_b32 v3, v3, v1
	s_waitcnt lgkmcnt(0)
	v_add_f32_e32 v1, v1, v3
	s_and_saveexec_b64 s[4:5], vcc
	s_cbranch_execz .LBB1_8
; %bb.7:
	v_lshrrev_b32_e32 v3, 4, v0
	ds_write_b32 v3, v1
.LBB1_8:
	s_or_b64 exec, exec, s[4:5]
	v_cmp_eq_u32_e32 vcc, 0, v0
	s_waitcnt lgkmcnt(0)
	s_barrier
	s_and_saveexec_b64 s[4:5], vcc
	s_cbranch_execz .LBB1_10
; %bb.9:
	v_mov_b32_e32 v3, 0
	ds_read_b32 v4, v3 offset:4
	s_waitcnt lgkmcnt(0)
	v_add_f32_e32 v1, v1, v4
	ds_write_b32 v3, v1
.LBB1_10:
	s_or_b64 exec, exec, s[4:5]
	s_waitcnt lgkmcnt(0)
	s_barrier
	s_and_saveexec_b64 s[4:5], vcc
	s_cbranch_execz .LBB1_20
; %bb.11:
	s_mul_i32 s13, s7, s13
	s_mul_hi_u32 s16, s7, s12
	s_add_i32 s13, s16, s13
	s_mul_i32 s16, s6, s12
	s_add_i32 s13, s13, s16
	s_mul_i32 s12, s7, s12
	s_lshl_b64 s[12:13], s[12:13], 2
	s_add_u32 s12, s8, s12
	s_addc_u32 s13, s9, s13
	s_lshl_b64 s[8:9], s[10:11], 2
	s_add_u32 s8, s12, s8
	s_mul_i32 s10, s7, s15
	s_mul_hi_u32 s11, s7, s14
	s_addc_u32 s9, s13, s9
	s_add_i32 s10, s11, s10
	s_mul_i32 s6, s6, s14
	v_mov_b32_e32 v1, 0
	s_add_i32 s11, s10, s6
	s_mul_i32 s10, s7, s14
	ds_read_b32 v3, v1
	s_lshl_b64 s[6:7], s[10:11], 2
	s_add_u32 s6, s2, s6
	s_addc_u32 s7, s3, s7
	s_cmp_eq_u64 s[24:25], 0
	s_cselect_b64 s[2:3], -1, 0
	s_cmp_lg_u64 s[24:25], 0
	s_waitcnt lgkmcnt(0)
	v_cmp_nlt_f32_e32 vcc, 0, v3
	s_mov_b64 s[12:13], 0
	s_cselect_b64 s[10:11], -1, 0
	s_cbranch_vccz .LBB1_14
; %bb.12:
	v_mov_b32_e32 v4, 1.0
	s_mov_b64 s[16:17], 0
	s_and_b64 vcc, exec, s[10:11]
	ds_write_b32 v1, v4
	global_store_dword v1, v1, s[6:7]
	s_cbranch_vccz .LBB1_15
; %bb.13:
	v_mov_b32_e32 v1, 0
	global_load_dword v1, v1, s[8:9]
	s_mov_b64 s[14:15], -1
	s_and_b64 vcc, exec, s[16:17]
	s_cbranch_vccnz .LBB1_16
	s_branch .LBB1_17
.LBB1_14:
	s_mov_b64 s[16:17], -1
.LBB1_15:
	s_mov_b64 s[14:15], 0
                                        ; implicit-def: $vgpr1
	s_and_b64 vcc, exec, s[16:17]
	s_cbranch_vccz .LBB1_17
.LBB1_16:
	v_mov_b32_e32 v4, 0
	global_load_dword v5, v4, s[8:9]
	s_mov_b32 s12, 0xf800000
	v_mov_b32_e32 v6, 0x260
	s_mov_b64 s[14:15], s[10:11]
	s_waitcnt vmcnt(0)
	v_fmac_f32_e32 v3, v5, v5
	v_mul_f32_e32 v1, 0x4f800000, v3
	v_cmp_gt_f32_e32 vcc, s12, v3
	v_cndmask_b32_e32 v1, v3, v1, vcc
	v_sqrt_f32_e32 v3, v1
	s_mov_b64 s[12:13], s[2:3]
	v_add_u32_e32 v7, -1, v3
	v_add_u32_e32 v8, 1, v3
	v_fma_f32 v9, -v7, v3, v1
	v_fma_f32 v10, -v8, v3, v1
	v_cmp_ge_f32_e64 s[2:3], 0, v9
	v_cndmask_b32_e64 v3, v3, v7, s[2:3]
	v_cmp_lt_f32_e64 s[2:3], 0, v10
	v_cndmask_b32_e64 v3, v3, v8, s[2:3]
	v_mul_f32_e32 v7, 0x37800000, v3
	v_cndmask_b32_e32 v3, v3, v7, vcc
	v_cmp_class_f32_e32 vcc, v1, v6
	v_cndmask_b32_e32 v1, v3, v1, vcc
	v_cmp_le_f32_e32 vcc, 0, v5
	v_cndmask_b32_e64 v1, v1, -v1, vcc
	v_sub_f32_e32 v3, v5, v1
	v_sub_f32_e32 v5, v1, v5
	v_div_scale_f32 v6, s[2:3], v3, v3, 1.0
	v_div_scale_f32 v8, s[2:3], v1, v1, v5
	v_rcp_f32_e32 v9, v6
	v_rcp_f32_e32 v10, v8
	v_div_scale_f32 v7, vcc, 1.0, v3, 1.0
	v_fma_f32 v12, -v6, v9, 1.0
	v_fma_f32 v13, -v8, v10, 1.0
	v_fmac_f32_e32 v9, v12, v9
	v_div_scale_f32 v11, s[2:3], v5, v1, v5
	v_fmac_f32_e32 v10, v13, v10
	v_mul_f32_e32 v12, v7, v9
	v_mul_f32_e32 v13, v11, v10
	v_fma_f32 v14, -v6, v12, v7
	v_fma_f32 v15, -v8, v13, v11
	v_fmac_f32_e32 v12, v14, v9
	v_fmac_f32_e32 v13, v15, v10
	v_fma_f32 v6, -v6, v12, v7
	v_fma_f32 v7, -v8, v13, v11
	v_div_fmas_f32 v6, v6, v9, v12
	s_mov_b64 vcc, s[2:3]
	v_div_fixup_f32 v3, v6, v3, 1.0
	v_div_fmas_f32 v6, v7, v10, v13
	ds_write_b32 v4, v3
	v_div_fixup_f32 v3, v6, v1, v5
	global_store_dword v4, v3, s[6:7]
.LBB1_17:
	s_andn2_b64 vcc, exec, s[14:15]
	s_cbranch_vccz .LBB1_24
; %bb.18:
	s_andn2_b64 vcc, exec, s[12:13]
	s_cbranch_vccnz .LBB1_20
.LBB1_19:
	v_mov_b32_e32 v3, 0
	s_waitcnt vmcnt(0)
	global_store_dword v3, v1, s[8:9]
.LBB1_20:
	s_or_b64 exec, exec, s[4:5]
	s_waitcnt lgkmcnt(0)
	s_barrier
	s_and_saveexec_b64 s[2:3], s[0:1]
	s_cbranch_execz .LBB1_23
; %bb.21:
	s_waitcnt vmcnt(0)
	v_mov_b32_e32 v1, 0
	ds_read_b32 v1, v1
	s_lshl_b32 s2, s26, 7
	s_mov_b64 s[0:1], 0
	v_mov_b32_e32 v4, s20
.LBB1_22:                               ; =>This Inner Loop Header: Depth=1
	v_ashrrev_i32_e32 v3, 31, v2
	v_lshlrev_b64 v[6:7], 2, v[2:3]
	v_add_co_u32_e32 v6, vcc, s18, v6
	v_addc_co_u32_e32 v7, vcc, v4, v7, vcc
	global_load_dword v3, v[6:7], off
	v_add_u32_e32 v0, 0x80, v0
	v_cmp_le_i32_e32 vcc, s19, v0
	s_or_b64 s[0:1], vcc, s[0:1]
	v_add_u32_e32 v2, s2, v2
	s_waitcnt vmcnt(0) lgkmcnt(0)
	v_mul_f32_e32 v3, v1, v3
	global_store_dword v[6:7], v3, off
	s_andn2_b64 exec, exec, s[0:1]
	s_cbranch_execnz .LBB1_22
.LBB1_23:
	s_endpgm
.LBB1_24:
	v_pk_mov_b32 v[4:5], s[24:25], s[24:25] op_sel:[0,1]
	s_waitcnt vmcnt(0)
	flat_store_dword v[4:5], v1
	v_mov_b32_e32 v1, 1.0
	s_branch .LBB1_19
	.section	.rodata,"a",@progbits
	.p2align	6, 0x0
	.amdhsa_kernel _ZN9rocsolver6v33100L18larfg_kernel_smallILi128EfifPfEEvT1_T3_llPT2_llS4_lS3_lPT0_l
		.amdhsa_group_segment_fixed_size 8
		.amdhsa_private_segment_fixed_size 0
		.amdhsa_kernarg_size 104
		.amdhsa_user_sgpr_count 6
		.amdhsa_user_sgpr_private_segment_buffer 1
		.amdhsa_user_sgpr_dispatch_ptr 0
		.amdhsa_user_sgpr_queue_ptr 0
		.amdhsa_user_sgpr_kernarg_segment_ptr 1
		.amdhsa_user_sgpr_dispatch_id 0
		.amdhsa_user_sgpr_flat_scratch_init 0
		.amdhsa_user_sgpr_kernarg_preload_length 0
		.amdhsa_user_sgpr_kernarg_preload_offset 0
		.amdhsa_user_sgpr_private_segment_size 0
		.amdhsa_uses_dynamic_stack 0
		.amdhsa_system_sgpr_private_segment_wavefront_offset 0
		.amdhsa_system_sgpr_workgroup_id_x 1
		.amdhsa_system_sgpr_workgroup_id_y 0
		.amdhsa_system_sgpr_workgroup_id_z 1
		.amdhsa_system_sgpr_workgroup_info 0
		.amdhsa_system_vgpr_workitem_id 0
		.amdhsa_next_free_vgpr 16
		.amdhsa_next_free_sgpr 27
		.amdhsa_accum_offset 16
		.amdhsa_reserve_vcc 1
		.amdhsa_reserve_flat_scratch 0
		.amdhsa_float_round_mode_32 0
		.amdhsa_float_round_mode_16_64 0
		.amdhsa_float_denorm_mode_32 3
		.amdhsa_float_denorm_mode_16_64 3
		.amdhsa_dx10_clamp 1
		.amdhsa_ieee_mode 1
		.amdhsa_fp16_overflow 0
		.amdhsa_tg_split 0
		.amdhsa_exception_fp_ieee_invalid_op 0
		.amdhsa_exception_fp_denorm_src 0
		.amdhsa_exception_fp_ieee_div_zero 0
		.amdhsa_exception_fp_ieee_overflow 0
		.amdhsa_exception_fp_ieee_underflow 0
		.amdhsa_exception_fp_ieee_inexact 0
		.amdhsa_exception_int_div_zero 0
	.end_amdhsa_kernel
	.section	.text._ZN9rocsolver6v33100L18larfg_kernel_smallILi128EfifPfEEvT1_T3_llPT2_llS4_lS3_lPT0_l,"axG",@progbits,_ZN9rocsolver6v33100L18larfg_kernel_smallILi128EfifPfEEvT1_T3_llPT2_llS4_lS3_lPT0_l,comdat
.Lfunc_end1:
	.size	_ZN9rocsolver6v33100L18larfg_kernel_smallILi128EfifPfEEvT1_T3_llPT2_llS4_lS3_lPT0_l, .Lfunc_end1-_ZN9rocsolver6v33100L18larfg_kernel_smallILi128EfifPfEEvT1_T3_llPT2_llS4_lS3_lPT0_l
                                        ; -- End function
	.section	.AMDGPU.csdata,"",@progbits
; Kernel info:
; codeLenInByte = 1356
; NumSgprs: 31
; NumVgprs: 16
; NumAgprs: 0
; TotalNumVgprs: 16
; ScratchSize: 0
; MemoryBound: 0
; FloatMode: 240
; IeeeMode: 1
; LDSByteSize: 8 bytes/workgroup (compile time only)
; SGPRBlocks: 3
; VGPRBlocks: 1
; NumSGPRsForWavesPerEU: 31
; NumVGPRsForWavesPerEU: 16
; AccumOffset: 16
; Occupancy: 8
; WaveLimiterHint : 1
; COMPUTE_PGM_RSRC2:SCRATCH_EN: 0
; COMPUTE_PGM_RSRC2:USER_SGPR: 6
; COMPUTE_PGM_RSRC2:TRAP_HANDLER: 0
; COMPUTE_PGM_RSRC2:TGID_X_EN: 1
; COMPUTE_PGM_RSRC2:TGID_Y_EN: 0
; COMPUTE_PGM_RSRC2:TGID_Z_EN: 1
; COMPUTE_PGM_RSRC2:TIDIG_COMP_CNT: 0
; COMPUTE_PGM_RSRC3_GFX90A:ACCUM_OFFSET: 3
; COMPUTE_PGM_RSRC3_GFX90A:TG_SPLIT: 0
	.section	.text._ZN9rocsolver6v33100L18larfg_kernel_smallILi256EfifPfEEvT1_T3_llPT2_llS4_lS3_lPT0_l,"axG",@progbits,_ZN9rocsolver6v33100L18larfg_kernel_smallILi256EfifPfEEvT1_T3_llPT2_llS4_lS3_lPT0_l,comdat
	.globl	_ZN9rocsolver6v33100L18larfg_kernel_smallILi256EfifPfEEvT1_T3_llPT2_llS4_lS3_lPT0_l ; -- Begin function _ZN9rocsolver6v33100L18larfg_kernel_smallILi256EfifPfEEvT1_T3_llPT2_llS4_lS3_lPT0_l
	.p2align	8
	.type	_ZN9rocsolver6v33100L18larfg_kernel_smallILi256EfifPfEEvT1_T3_llPT2_llS4_lS3_lPT0_l,@function
_ZN9rocsolver6v33100L18larfg_kernel_smallILi256EfifPfEEvT1_T3_llPT2_llS4_lS3_lPT0_l: ; @_ZN9rocsolver6v33100L18larfg_kernel_smallILi256EfifPfEEvT1_T3_llPT2_llS4_lS3_lPT0_l
; %bb.0:
	s_load_dwordx16 s[8:23], s[4:5], 0x8
	s_ashr_i32 s6, s7, 31
	s_mov_b64 s[24:25], 0
	s_waitcnt lgkmcnt(0)
	s_cmp_eq_u64 s[14:15], 0
	s_cbranch_scc1 .LBB2_2
; %bb.1:
	s_mul_i32 s0, s7, s19
	s_mul_hi_u32 s1, s7, s18
	s_add_i32 s0, s1, s0
	s_mul_i32 s1, s6, s18
	s_add_i32 s1, s0, s1
	s_mul_i32 s0, s7, s18
	s_lshl_b64 s[0:1], s[0:1], 2
	s_add_u32 s2, s14, s0
	s_addc_u32 s3, s15, s1
	s_lshl_b64 s[0:1], s[16:17], 2
	s_add_u32 s24, s2, s0
	s_addc_u32 s25, s3, s1
.LBB2_2:
	s_load_dwordx4 s[0:3], s[4:5], 0x50
	s_load_dword s19, s[4:5], 0x0
	s_load_dword s26, s[4:5], 0x48
	s_load_dwordx2 s[14:15], s[4:5], 0x60
	v_mov_b32_e32 v1, 0
	s_waitcnt lgkmcnt(0)
	s_mul_i32 s1, s7, s1
	s_mul_hi_u32 s4, s7, s0
	s_add_i32 s1, s4, s1
	s_mul_i32 s4, s6, s0
	s_add_i32 s1, s1, s4
	s_mul_i32 s0, s7, s0
	s_lshl_b64 s[0:1], s[0:1], 2
	s_add_u32 s4, s20, s0
	s_addc_u32 s5, s21, s1
	s_lshl_b64 s[0:1], s[22:23], 2
	s_add_u32 s18, s4, s0
	s_addc_u32 s20, s5, s1
	s_add_i32 s19, s19, -1
	v_cmp_gt_i32_e64 s[0:1], s19, v0
	v_mul_lo_u32 v2, v0, s26
	s_and_saveexec_b64 s[4:5], s[0:1]
	s_cbranch_execz .LBB2_6
; %bb.3:
	v_mul_lo_u32 v4, v0, s26
	s_lshl_b32 s21, s26, 8
	s_mov_b64 s[16:17], 0
	v_mov_b32_e32 v1, 0
	v_mov_b32_e32 v3, s20
	;; [unrolled: 1-line block ×3, first 2 shown]
.LBB2_4:                                ; =>This Inner Loop Header: Depth=1
	v_ashrrev_i32_e32 v5, 31, v4
	v_lshlrev_b64 v[8:9], 2, v[4:5]
	v_add_co_u32_e32 v8, vcc, s18, v8
	v_addc_co_u32_e32 v9, vcc, v3, v9, vcc
	global_load_dword v5, v[8:9], off
	v_add_u32_e32 v6, 0x100, v6
	v_cmp_le_i32_e32 vcc, s19, v6
	s_or_b64 s[16:17], vcc, s[16:17]
	v_add_u32_e32 v4, s21, v4
	s_waitcnt vmcnt(0)
	v_mul_f32_e32 v5, v5, v5
	v_add_f32_e32 v1, v1, v5
	s_andn2_b64 exec, exec, s[16:17]
	s_cbranch_execnz .LBB2_4
; %bb.5:
	s_or_b64 exec, exec, s[16:17]
.LBB2_6:
	s_or_b64 exec, exec, s[4:5]
	v_mbcnt_lo_u32_b32 v3, -1, 0
	v_mbcnt_hi_u32_b32 v3, -1, v3
	v_and_b32_e32 v4, 63, v3
	v_cmp_ne_u32_e32 vcc, 63, v4
	v_addc_co_u32_e32 v5, vcc, 0, v3, vcc
	v_lshlrev_b32_e32 v5, 2, v5
	ds_bpermute_b32 v5, v5, v1
	v_cmp_gt_u32_e32 vcc, 62, v4
	v_cndmask_b32_e64 v6, 0, 1, vcc
	v_cmp_gt_u32_e32 vcc, 60, v4
	s_waitcnt lgkmcnt(0)
	v_add_f32_e32 v1, v1, v5
	v_lshlrev_b32_e32 v5, 1, v6
	v_add_lshl_u32 v5, v5, v3, 2
	ds_bpermute_b32 v5, v5, v1
	v_cndmask_b32_e64 v6, 0, 1, vcc
	v_cmp_gt_u32_e32 vcc, 56, v4
	s_waitcnt lgkmcnt(0)
	v_add_f32_e32 v1, v1, v5
	v_lshlrev_b32_e32 v5, 2, v6
	v_add_lshl_u32 v5, v5, v3, 2
	ds_bpermute_b32 v5, v5, v1
	;; [unrolled: 7-line block ×3, first 2 shown]
	v_cndmask_b32_e64 v6, 0, 1, vcc
	v_cmp_gt_u32_e32 vcc, 32, v4
	v_cndmask_b32_e64 v4, 0, 1, vcc
	v_lshlrev_b32_e32 v4, 5, v4
	s_waitcnt lgkmcnt(0)
	v_add_f32_e32 v1, v1, v5
	v_lshlrev_b32_e32 v5, 4, v6
	v_add_lshl_u32 v5, v5, v3, 2
	ds_bpermute_b32 v5, v5, v1
	v_add_lshl_u32 v3, v4, v3, 2
	v_and_b32_e32 v4, 63, v0
	v_cmp_eq_u32_e32 vcc, 0, v4
	s_waitcnt lgkmcnt(0)
	v_add_f32_e32 v1, v1, v5
	ds_bpermute_b32 v3, v3, v1
	s_waitcnt lgkmcnt(0)
	v_add_f32_e32 v1, v1, v3
	s_and_saveexec_b64 s[4:5], vcc
	s_cbranch_execz .LBB2_8
; %bb.7:
	v_lshrrev_b32_e32 v3, 4, v0
	ds_write_b32 v3, v1
.LBB2_8:
	s_or_b64 exec, exec, s[4:5]
	v_cmp_eq_u32_e32 vcc, 0, v0
	s_waitcnt lgkmcnt(0)
	s_barrier
	s_and_saveexec_b64 s[4:5], vcc
	s_cbranch_execz .LBB2_10
; %bb.9:
	v_mov_b32_e32 v3, 0
	ds_read2_b32 v[4:5], v3 offset0:1 offset1:2
	ds_read_b32 v6, v3 offset:12
	s_waitcnt lgkmcnt(1)
	v_add_f32_e32 v1, v1, v4
	v_add_f32_e32 v1, v1, v5
	s_waitcnt lgkmcnt(0)
	v_add_f32_e32 v1, v1, v6
	ds_write_b32 v3, v1
.LBB2_10:
	s_or_b64 exec, exec, s[4:5]
	s_waitcnt lgkmcnt(0)
	s_barrier
	s_and_saveexec_b64 s[4:5], vcc
	s_cbranch_execz .LBB2_20
; %bb.11:
	s_mul_i32 s13, s7, s13
	s_mul_hi_u32 s16, s7, s12
	s_add_i32 s13, s16, s13
	s_mul_i32 s16, s6, s12
	s_add_i32 s13, s13, s16
	s_mul_i32 s12, s7, s12
	s_lshl_b64 s[12:13], s[12:13], 2
	s_add_u32 s12, s8, s12
	s_addc_u32 s13, s9, s13
	s_lshl_b64 s[8:9], s[10:11], 2
	s_add_u32 s8, s12, s8
	s_mul_i32 s10, s7, s15
	s_mul_hi_u32 s11, s7, s14
	s_addc_u32 s9, s13, s9
	s_add_i32 s10, s11, s10
	s_mul_i32 s6, s6, s14
	v_mov_b32_e32 v1, 0
	s_add_i32 s11, s10, s6
	s_mul_i32 s10, s7, s14
	ds_read_b32 v3, v1
	s_lshl_b64 s[6:7], s[10:11], 2
	s_add_u32 s6, s2, s6
	s_addc_u32 s7, s3, s7
	s_cmp_eq_u64 s[24:25], 0
	s_cselect_b64 s[2:3], -1, 0
	s_cmp_lg_u64 s[24:25], 0
	s_waitcnt lgkmcnt(0)
	v_cmp_nlt_f32_e32 vcc, 0, v3
	s_mov_b64 s[12:13], 0
	s_cselect_b64 s[10:11], -1, 0
	s_cbranch_vccz .LBB2_14
; %bb.12:
	v_mov_b32_e32 v4, 1.0
	s_mov_b64 s[16:17], 0
	s_and_b64 vcc, exec, s[10:11]
	ds_write_b32 v1, v4
	global_store_dword v1, v1, s[6:7]
	s_cbranch_vccz .LBB2_15
; %bb.13:
	v_mov_b32_e32 v1, 0
	global_load_dword v1, v1, s[8:9]
	s_mov_b64 s[14:15], -1
	s_and_b64 vcc, exec, s[16:17]
	s_cbranch_vccnz .LBB2_16
	s_branch .LBB2_17
.LBB2_14:
	s_mov_b64 s[16:17], -1
.LBB2_15:
	s_mov_b64 s[14:15], 0
                                        ; implicit-def: $vgpr1
	s_and_b64 vcc, exec, s[16:17]
	s_cbranch_vccz .LBB2_17
.LBB2_16:
	v_mov_b32_e32 v4, 0
	global_load_dword v5, v4, s[8:9]
	s_mov_b32 s12, 0xf800000
	v_mov_b32_e32 v6, 0x260
	s_mov_b64 s[14:15], s[10:11]
	s_waitcnt vmcnt(0)
	v_fmac_f32_e32 v3, v5, v5
	v_mul_f32_e32 v1, 0x4f800000, v3
	v_cmp_gt_f32_e32 vcc, s12, v3
	v_cndmask_b32_e32 v1, v3, v1, vcc
	v_sqrt_f32_e32 v3, v1
	s_mov_b64 s[12:13], s[2:3]
	v_add_u32_e32 v7, -1, v3
	v_add_u32_e32 v8, 1, v3
	v_fma_f32 v9, -v7, v3, v1
	v_fma_f32 v10, -v8, v3, v1
	v_cmp_ge_f32_e64 s[2:3], 0, v9
	v_cndmask_b32_e64 v3, v3, v7, s[2:3]
	v_cmp_lt_f32_e64 s[2:3], 0, v10
	v_cndmask_b32_e64 v3, v3, v8, s[2:3]
	v_mul_f32_e32 v7, 0x37800000, v3
	v_cndmask_b32_e32 v3, v3, v7, vcc
	v_cmp_class_f32_e32 vcc, v1, v6
	v_cndmask_b32_e32 v1, v3, v1, vcc
	v_cmp_le_f32_e32 vcc, 0, v5
	v_cndmask_b32_e64 v1, v1, -v1, vcc
	v_sub_f32_e32 v3, v5, v1
	v_sub_f32_e32 v5, v1, v5
	v_div_scale_f32 v6, s[2:3], v3, v3, 1.0
	v_div_scale_f32 v8, s[2:3], v1, v1, v5
	v_rcp_f32_e32 v9, v6
	v_rcp_f32_e32 v10, v8
	v_div_scale_f32 v7, vcc, 1.0, v3, 1.0
	v_fma_f32 v12, -v6, v9, 1.0
	v_fma_f32 v13, -v8, v10, 1.0
	v_fmac_f32_e32 v9, v12, v9
	v_div_scale_f32 v11, s[2:3], v5, v1, v5
	v_fmac_f32_e32 v10, v13, v10
	v_mul_f32_e32 v12, v7, v9
	v_mul_f32_e32 v13, v11, v10
	v_fma_f32 v14, -v6, v12, v7
	v_fma_f32 v15, -v8, v13, v11
	v_fmac_f32_e32 v12, v14, v9
	v_fmac_f32_e32 v13, v15, v10
	v_fma_f32 v6, -v6, v12, v7
	v_fma_f32 v7, -v8, v13, v11
	v_div_fmas_f32 v6, v6, v9, v12
	s_mov_b64 vcc, s[2:3]
	v_div_fixup_f32 v3, v6, v3, 1.0
	v_div_fmas_f32 v6, v7, v10, v13
	ds_write_b32 v4, v3
	v_div_fixup_f32 v3, v6, v1, v5
	global_store_dword v4, v3, s[6:7]
.LBB2_17:
	s_andn2_b64 vcc, exec, s[14:15]
	s_cbranch_vccz .LBB2_24
; %bb.18:
	s_andn2_b64 vcc, exec, s[12:13]
	s_cbranch_vccnz .LBB2_20
.LBB2_19:
	v_mov_b32_e32 v3, 0
	s_waitcnt vmcnt(0)
	global_store_dword v3, v1, s[8:9]
.LBB2_20:
	s_or_b64 exec, exec, s[4:5]
	s_waitcnt lgkmcnt(0)
	s_barrier
	s_and_saveexec_b64 s[2:3], s[0:1]
	s_cbranch_execz .LBB2_23
; %bb.21:
	s_waitcnt vmcnt(0)
	v_mov_b32_e32 v1, 0
	ds_read_b32 v1, v1
	s_lshl_b32 s2, s26, 8
	s_mov_b64 s[0:1], 0
	v_mov_b32_e32 v4, s20
.LBB2_22:                               ; =>This Inner Loop Header: Depth=1
	v_ashrrev_i32_e32 v3, 31, v2
	v_lshlrev_b64 v[6:7], 2, v[2:3]
	v_add_co_u32_e32 v6, vcc, s18, v6
	v_addc_co_u32_e32 v7, vcc, v4, v7, vcc
	global_load_dword v3, v[6:7], off
	v_add_u32_e32 v0, 0x100, v0
	v_cmp_le_i32_e32 vcc, s19, v0
	s_or_b64 s[0:1], vcc, s[0:1]
	v_add_u32_e32 v2, s2, v2
	s_waitcnt vmcnt(0) lgkmcnt(0)
	v_mul_f32_e32 v3, v1, v3
	global_store_dword v[6:7], v3, off
	s_andn2_b64 exec, exec, s[0:1]
	s_cbranch_execnz .LBB2_22
.LBB2_23:
	s_endpgm
.LBB2_24:
	v_pk_mov_b32 v[4:5], s[24:25], s[24:25] op_sel:[0,1]
	s_waitcnt vmcnt(0)
	flat_store_dword v[4:5], v1
	v_mov_b32_e32 v1, 1.0
	s_branch .LBB2_19
	.section	.rodata,"a",@progbits
	.p2align	6, 0x0
	.amdhsa_kernel _ZN9rocsolver6v33100L18larfg_kernel_smallILi256EfifPfEEvT1_T3_llPT2_llS4_lS3_lPT0_l
		.amdhsa_group_segment_fixed_size 16
		.amdhsa_private_segment_fixed_size 0
		.amdhsa_kernarg_size 104
		.amdhsa_user_sgpr_count 6
		.amdhsa_user_sgpr_private_segment_buffer 1
		.amdhsa_user_sgpr_dispatch_ptr 0
		.amdhsa_user_sgpr_queue_ptr 0
		.amdhsa_user_sgpr_kernarg_segment_ptr 1
		.amdhsa_user_sgpr_dispatch_id 0
		.amdhsa_user_sgpr_flat_scratch_init 0
		.amdhsa_user_sgpr_kernarg_preload_length 0
		.amdhsa_user_sgpr_kernarg_preload_offset 0
		.amdhsa_user_sgpr_private_segment_size 0
		.amdhsa_uses_dynamic_stack 0
		.amdhsa_system_sgpr_private_segment_wavefront_offset 0
		.amdhsa_system_sgpr_workgroup_id_x 1
		.amdhsa_system_sgpr_workgroup_id_y 0
		.amdhsa_system_sgpr_workgroup_id_z 1
		.amdhsa_system_sgpr_workgroup_info 0
		.amdhsa_system_vgpr_workitem_id 0
		.amdhsa_next_free_vgpr 16
		.amdhsa_next_free_sgpr 27
		.amdhsa_accum_offset 16
		.amdhsa_reserve_vcc 1
		.amdhsa_reserve_flat_scratch 0
		.amdhsa_float_round_mode_32 0
		.amdhsa_float_round_mode_16_64 0
		.amdhsa_float_denorm_mode_32 3
		.amdhsa_float_denorm_mode_16_64 3
		.amdhsa_dx10_clamp 1
		.amdhsa_ieee_mode 1
		.amdhsa_fp16_overflow 0
		.amdhsa_tg_split 0
		.amdhsa_exception_fp_ieee_invalid_op 0
		.amdhsa_exception_fp_denorm_src 0
		.amdhsa_exception_fp_ieee_div_zero 0
		.amdhsa_exception_fp_ieee_overflow 0
		.amdhsa_exception_fp_ieee_underflow 0
		.amdhsa_exception_fp_ieee_inexact 0
		.amdhsa_exception_int_div_zero 0
	.end_amdhsa_kernel
	.section	.text._ZN9rocsolver6v33100L18larfg_kernel_smallILi256EfifPfEEvT1_T3_llPT2_llS4_lS3_lPT0_l,"axG",@progbits,_ZN9rocsolver6v33100L18larfg_kernel_smallILi256EfifPfEEvT1_T3_llPT2_llS4_lS3_lPT0_l,comdat
.Lfunc_end2:
	.size	_ZN9rocsolver6v33100L18larfg_kernel_smallILi256EfifPfEEvT1_T3_llPT2_llS4_lS3_lPT0_l, .Lfunc_end2-_ZN9rocsolver6v33100L18larfg_kernel_smallILi256EfifPfEEvT1_T3_llPT2_llS4_lS3_lPT0_l
                                        ; -- End function
	.section	.AMDGPU.csdata,"",@progbits
; Kernel info:
; codeLenInByte = 1376
; NumSgprs: 31
; NumVgprs: 16
; NumAgprs: 0
; TotalNumVgprs: 16
; ScratchSize: 0
; MemoryBound: 0
; FloatMode: 240
; IeeeMode: 1
; LDSByteSize: 16 bytes/workgroup (compile time only)
; SGPRBlocks: 3
; VGPRBlocks: 1
; NumSGPRsForWavesPerEU: 31
; NumVGPRsForWavesPerEU: 16
; AccumOffset: 16
; Occupancy: 8
; WaveLimiterHint : 1
; COMPUTE_PGM_RSRC2:SCRATCH_EN: 0
; COMPUTE_PGM_RSRC2:USER_SGPR: 6
; COMPUTE_PGM_RSRC2:TRAP_HANDLER: 0
; COMPUTE_PGM_RSRC2:TGID_X_EN: 1
; COMPUTE_PGM_RSRC2:TGID_Y_EN: 0
; COMPUTE_PGM_RSRC2:TGID_Z_EN: 1
; COMPUTE_PGM_RSRC2:TIDIG_COMP_CNT: 0
; COMPUTE_PGM_RSRC3_GFX90A:ACCUM_OFFSET: 3
; COMPUTE_PGM_RSRC3_GFX90A:TG_SPLIT: 0
	.section	.text._ZN9rocsolver6v33100L18larfg_kernel_smallILi512EfifPfEEvT1_T3_llPT2_llS4_lS3_lPT0_l,"axG",@progbits,_ZN9rocsolver6v33100L18larfg_kernel_smallILi512EfifPfEEvT1_T3_llPT2_llS4_lS3_lPT0_l,comdat
	.globl	_ZN9rocsolver6v33100L18larfg_kernel_smallILi512EfifPfEEvT1_T3_llPT2_llS4_lS3_lPT0_l ; -- Begin function _ZN9rocsolver6v33100L18larfg_kernel_smallILi512EfifPfEEvT1_T3_llPT2_llS4_lS3_lPT0_l
	.p2align	8
	.type	_ZN9rocsolver6v33100L18larfg_kernel_smallILi512EfifPfEEvT1_T3_llPT2_llS4_lS3_lPT0_l,@function
_ZN9rocsolver6v33100L18larfg_kernel_smallILi512EfifPfEEvT1_T3_llPT2_llS4_lS3_lPT0_l: ; @_ZN9rocsolver6v33100L18larfg_kernel_smallILi512EfifPfEEvT1_T3_llPT2_llS4_lS3_lPT0_l
; %bb.0:
	s_load_dwordx16 s[8:23], s[4:5], 0x8
	s_ashr_i32 s6, s7, 31
	s_mov_b64 s[24:25], 0
	s_waitcnt lgkmcnt(0)
	s_cmp_eq_u64 s[14:15], 0
	s_cbranch_scc1 .LBB3_2
; %bb.1:
	s_mul_i32 s0, s7, s19
	s_mul_hi_u32 s1, s7, s18
	s_add_i32 s0, s1, s0
	s_mul_i32 s1, s6, s18
	s_add_i32 s1, s0, s1
	s_mul_i32 s0, s7, s18
	s_lshl_b64 s[0:1], s[0:1], 2
	s_add_u32 s2, s14, s0
	s_addc_u32 s3, s15, s1
	s_lshl_b64 s[0:1], s[16:17], 2
	s_add_u32 s24, s2, s0
	s_addc_u32 s25, s3, s1
.LBB3_2:
	s_load_dwordx4 s[0:3], s[4:5], 0x50
	s_load_dword s19, s[4:5], 0x0
	s_load_dword s26, s[4:5], 0x48
	s_load_dwordx2 s[14:15], s[4:5], 0x60
	v_mov_b32_e32 v1, 0
	s_waitcnt lgkmcnt(0)
	s_mul_i32 s1, s7, s1
	s_mul_hi_u32 s4, s7, s0
	s_add_i32 s1, s4, s1
	s_mul_i32 s4, s6, s0
	s_add_i32 s1, s1, s4
	s_mul_i32 s0, s7, s0
	s_lshl_b64 s[0:1], s[0:1], 2
	s_add_u32 s4, s20, s0
	s_addc_u32 s5, s21, s1
	s_lshl_b64 s[0:1], s[22:23], 2
	s_add_u32 s18, s4, s0
	s_addc_u32 s20, s5, s1
	s_add_i32 s19, s19, -1
	v_cmp_gt_i32_e64 s[0:1], s19, v0
	v_mul_lo_u32 v2, v0, s26
	s_and_saveexec_b64 s[4:5], s[0:1]
	s_cbranch_execz .LBB3_6
; %bb.3:
	v_mul_lo_u32 v4, v0, s26
	s_lshl_b32 s21, s26, 9
	s_mov_b64 s[16:17], 0
	v_mov_b32_e32 v1, 0
	v_mov_b32_e32 v3, s20
	;; [unrolled: 1-line block ×3, first 2 shown]
.LBB3_4:                                ; =>This Inner Loop Header: Depth=1
	v_ashrrev_i32_e32 v5, 31, v4
	v_lshlrev_b64 v[8:9], 2, v[4:5]
	v_add_co_u32_e32 v8, vcc, s18, v8
	v_addc_co_u32_e32 v9, vcc, v3, v9, vcc
	global_load_dword v5, v[8:9], off
	v_add_u32_e32 v6, 0x200, v6
	v_cmp_le_i32_e32 vcc, s19, v6
	s_or_b64 s[16:17], vcc, s[16:17]
	v_add_u32_e32 v4, s21, v4
	s_waitcnt vmcnt(0)
	v_mul_f32_e32 v5, v5, v5
	v_add_f32_e32 v1, v1, v5
	s_andn2_b64 exec, exec, s[16:17]
	s_cbranch_execnz .LBB3_4
; %bb.5:
	s_or_b64 exec, exec, s[16:17]
.LBB3_6:
	s_or_b64 exec, exec, s[4:5]
	v_mbcnt_lo_u32_b32 v3, -1, 0
	v_mbcnt_hi_u32_b32 v3, -1, v3
	v_and_b32_e32 v4, 63, v3
	v_cmp_ne_u32_e32 vcc, 63, v4
	v_addc_co_u32_e32 v5, vcc, 0, v3, vcc
	v_lshlrev_b32_e32 v5, 2, v5
	ds_bpermute_b32 v5, v5, v1
	v_cmp_gt_u32_e32 vcc, 62, v4
	v_cndmask_b32_e64 v6, 0, 1, vcc
	v_cmp_gt_u32_e32 vcc, 60, v4
	s_waitcnt lgkmcnt(0)
	v_add_f32_e32 v1, v1, v5
	v_lshlrev_b32_e32 v5, 1, v6
	v_add_lshl_u32 v5, v5, v3, 2
	ds_bpermute_b32 v5, v5, v1
	v_cndmask_b32_e64 v6, 0, 1, vcc
	v_cmp_gt_u32_e32 vcc, 56, v4
	s_waitcnt lgkmcnt(0)
	v_add_f32_e32 v1, v1, v5
	v_lshlrev_b32_e32 v5, 2, v6
	v_add_lshl_u32 v5, v5, v3, 2
	ds_bpermute_b32 v5, v5, v1
	;; [unrolled: 7-line block ×3, first 2 shown]
	v_cndmask_b32_e64 v6, 0, 1, vcc
	v_cmp_gt_u32_e32 vcc, 32, v4
	v_cndmask_b32_e64 v4, 0, 1, vcc
	v_lshlrev_b32_e32 v4, 5, v4
	s_waitcnt lgkmcnt(0)
	v_add_f32_e32 v1, v1, v5
	v_lshlrev_b32_e32 v5, 4, v6
	v_add_lshl_u32 v5, v5, v3, 2
	ds_bpermute_b32 v5, v5, v1
	v_add_lshl_u32 v3, v4, v3, 2
	v_and_b32_e32 v4, 63, v0
	v_cmp_eq_u32_e32 vcc, 0, v4
	s_waitcnt lgkmcnt(0)
	v_add_f32_e32 v1, v1, v5
	ds_bpermute_b32 v3, v3, v1
	s_waitcnt lgkmcnt(0)
	v_add_f32_e32 v1, v1, v3
	s_and_saveexec_b64 s[4:5], vcc
	s_cbranch_execz .LBB3_8
; %bb.7:
	v_lshrrev_b32_e32 v3, 4, v0
	ds_write_b32 v3, v1
.LBB3_8:
	s_or_b64 exec, exec, s[4:5]
	v_cmp_eq_u32_e32 vcc, 0, v0
	s_waitcnt lgkmcnt(0)
	s_barrier
	s_and_saveexec_b64 s[4:5], vcc
	s_cbranch_execz .LBB3_10
; %bb.9:
	v_mov_b32_e32 v3, 0
	ds_read2_b32 v[4:5], v3 offset0:1 offset1:2
	ds_read2_b32 v[6:7], v3 offset0:3 offset1:4
	;; [unrolled: 1-line block ×3, first 2 shown]
	ds_read_b32 v10, v3 offset:28
	s_waitcnt lgkmcnt(3)
	v_add_f32_e32 v1, v1, v4
	v_add_f32_e32 v1, v1, v5
	s_waitcnt lgkmcnt(2)
	v_add_f32_e32 v1, v1, v6
	v_add_f32_e32 v1, v1, v7
	;; [unrolled: 3-line block ×3, first 2 shown]
	s_waitcnt lgkmcnt(0)
	v_add_f32_e32 v1, v1, v10
	ds_write_b32 v3, v1
.LBB3_10:
	s_or_b64 exec, exec, s[4:5]
	s_waitcnt lgkmcnt(0)
	s_barrier
	s_and_saveexec_b64 s[4:5], vcc
	s_cbranch_execz .LBB3_20
; %bb.11:
	s_mul_i32 s13, s7, s13
	s_mul_hi_u32 s16, s7, s12
	s_add_i32 s13, s16, s13
	s_mul_i32 s16, s6, s12
	s_add_i32 s13, s13, s16
	s_mul_i32 s12, s7, s12
	s_lshl_b64 s[12:13], s[12:13], 2
	s_add_u32 s12, s8, s12
	s_addc_u32 s13, s9, s13
	s_lshl_b64 s[8:9], s[10:11], 2
	s_add_u32 s8, s12, s8
	s_mul_i32 s10, s7, s15
	s_mul_hi_u32 s11, s7, s14
	s_addc_u32 s9, s13, s9
	s_add_i32 s10, s11, s10
	s_mul_i32 s6, s6, s14
	v_mov_b32_e32 v1, 0
	s_add_i32 s11, s10, s6
	s_mul_i32 s10, s7, s14
	ds_read_b32 v3, v1
	s_lshl_b64 s[6:7], s[10:11], 2
	s_add_u32 s6, s2, s6
	s_addc_u32 s7, s3, s7
	s_cmp_eq_u64 s[24:25], 0
	s_cselect_b64 s[2:3], -1, 0
	s_cmp_lg_u64 s[24:25], 0
	s_waitcnt lgkmcnt(0)
	v_cmp_nlt_f32_e32 vcc, 0, v3
	s_mov_b64 s[12:13], 0
	s_cselect_b64 s[10:11], -1, 0
	s_cbranch_vccz .LBB3_14
; %bb.12:
	v_mov_b32_e32 v4, 1.0
	s_mov_b64 s[16:17], 0
	s_and_b64 vcc, exec, s[10:11]
	ds_write_b32 v1, v4
	global_store_dword v1, v1, s[6:7]
	s_cbranch_vccz .LBB3_15
; %bb.13:
	v_mov_b32_e32 v1, 0
	global_load_dword v1, v1, s[8:9]
	s_mov_b64 s[14:15], -1
	s_and_b64 vcc, exec, s[16:17]
	s_cbranch_vccnz .LBB3_16
	s_branch .LBB3_17
.LBB3_14:
	s_mov_b64 s[16:17], -1
.LBB3_15:
	s_mov_b64 s[14:15], 0
                                        ; implicit-def: $vgpr1
	s_and_b64 vcc, exec, s[16:17]
	s_cbranch_vccz .LBB3_17
.LBB3_16:
	v_mov_b32_e32 v4, 0
	global_load_dword v5, v4, s[8:9]
	s_mov_b32 s12, 0xf800000
	v_mov_b32_e32 v6, 0x260
	s_mov_b64 s[14:15], s[10:11]
	s_waitcnt vmcnt(0)
	v_fmac_f32_e32 v3, v5, v5
	v_mul_f32_e32 v1, 0x4f800000, v3
	v_cmp_gt_f32_e32 vcc, s12, v3
	v_cndmask_b32_e32 v1, v3, v1, vcc
	v_sqrt_f32_e32 v3, v1
	s_mov_b64 s[12:13], s[2:3]
	v_add_u32_e32 v7, -1, v3
	v_add_u32_e32 v8, 1, v3
	v_fma_f32 v9, -v7, v3, v1
	v_fma_f32 v10, -v8, v3, v1
	v_cmp_ge_f32_e64 s[2:3], 0, v9
	v_cndmask_b32_e64 v3, v3, v7, s[2:3]
	v_cmp_lt_f32_e64 s[2:3], 0, v10
	v_cndmask_b32_e64 v3, v3, v8, s[2:3]
	v_mul_f32_e32 v7, 0x37800000, v3
	v_cndmask_b32_e32 v3, v3, v7, vcc
	v_cmp_class_f32_e32 vcc, v1, v6
	v_cndmask_b32_e32 v1, v3, v1, vcc
	v_cmp_le_f32_e32 vcc, 0, v5
	v_cndmask_b32_e64 v1, v1, -v1, vcc
	v_sub_f32_e32 v3, v5, v1
	v_sub_f32_e32 v5, v1, v5
	v_div_scale_f32 v6, s[2:3], v3, v3, 1.0
	v_div_scale_f32 v8, s[2:3], v1, v1, v5
	v_rcp_f32_e32 v9, v6
	v_rcp_f32_e32 v10, v8
	v_div_scale_f32 v7, vcc, 1.0, v3, 1.0
	v_fma_f32 v12, -v6, v9, 1.0
	v_fma_f32 v13, -v8, v10, 1.0
	v_fmac_f32_e32 v9, v12, v9
	v_div_scale_f32 v11, s[2:3], v5, v1, v5
	v_fmac_f32_e32 v10, v13, v10
	v_mul_f32_e32 v12, v7, v9
	v_mul_f32_e32 v13, v11, v10
	v_fma_f32 v14, -v6, v12, v7
	v_fma_f32 v15, -v8, v13, v11
	v_fmac_f32_e32 v12, v14, v9
	v_fmac_f32_e32 v13, v15, v10
	v_fma_f32 v6, -v6, v12, v7
	v_fma_f32 v7, -v8, v13, v11
	v_div_fmas_f32 v6, v6, v9, v12
	s_mov_b64 vcc, s[2:3]
	v_div_fixup_f32 v3, v6, v3, 1.0
	v_div_fmas_f32 v6, v7, v10, v13
	ds_write_b32 v4, v3
	v_div_fixup_f32 v3, v6, v1, v5
	global_store_dword v4, v3, s[6:7]
.LBB3_17:
	s_andn2_b64 vcc, exec, s[14:15]
	s_cbranch_vccz .LBB3_24
; %bb.18:
	s_andn2_b64 vcc, exec, s[12:13]
	s_cbranch_vccnz .LBB3_20
.LBB3_19:
	v_mov_b32_e32 v3, 0
	s_waitcnt vmcnt(0)
	global_store_dword v3, v1, s[8:9]
.LBB3_20:
	s_or_b64 exec, exec, s[4:5]
	s_waitcnt lgkmcnt(0)
	s_barrier
	s_and_saveexec_b64 s[2:3], s[0:1]
	s_cbranch_execz .LBB3_23
; %bb.21:
	s_waitcnt vmcnt(0)
	v_mov_b32_e32 v1, 0
	ds_read_b32 v1, v1
	s_lshl_b32 s2, s26, 9
	s_mov_b64 s[0:1], 0
	v_mov_b32_e32 v4, s20
.LBB3_22:                               ; =>This Inner Loop Header: Depth=1
	v_ashrrev_i32_e32 v3, 31, v2
	v_lshlrev_b64 v[6:7], 2, v[2:3]
	v_add_co_u32_e32 v6, vcc, s18, v6
	v_addc_co_u32_e32 v7, vcc, v4, v7, vcc
	global_load_dword v3, v[6:7], off
	v_add_u32_e32 v0, 0x200, v0
	v_cmp_le_i32_e32 vcc, s19, v0
	s_or_b64 s[0:1], vcc, s[0:1]
	v_add_u32_e32 v2, s2, v2
	s_waitcnt vmcnt(0) lgkmcnt(0)
	v_mul_f32_e32 v3, v1, v3
	global_store_dword v[6:7], v3, off
	s_andn2_b64 exec, exec, s[0:1]
	s_cbranch_execnz .LBB3_22
.LBB3_23:
	s_endpgm
.LBB3_24:
	v_pk_mov_b32 v[4:5], s[24:25], s[24:25] op_sel:[0,1]
	s_waitcnt vmcnt(0)
	flat_store_dword v[4:5], v1
	v_mov_b32_e32 v1, 1.0
	s_branch .LBB3_19
	.section	.rodata,"a",@progbits
	.p2align	6, 0x0
	.amdhsa_kernel _ZN9rocsolver6v33100L18larfg_kernel_smallILi512EfifPfEEvT1_T3_llPT2_llS4_lS3_lPT0_l
		.amdhsa_group_segment_fixed_size 32
		.amdhsa_private_segment_fixed_size 0
		.amdhsa_kernarg_size 104
		.amdhsa_user_sgpr_count 6
		.amdhsa_user_sgpr_private_segment_buffer 1
		.amdhsa_user_sgpr_dispatch_ptr 0
		.amdhsa_user_sgpr_queue_ptr 0
		.amdhsa_user_sgpr_kernarg_segment_ptr 1
		.amdhsa_user_sgpr_dispatch_id 0
		.amdhsa_user_sgpr_flat_scratch_init 0
		.amdhsa_user_sgpr_kernarg_preload_length 0
		.amdhsa_user_sgpr_kernarg_preload_offset 0
		.amdhsa_user_sgpr_private_segment_size 0
		.amdhsa_uses_dynamic_stack 0
		.amdhsa_system_sgpr_private_segment_wavefront_offset 0
		.amdhsa_system_sgpr_workgroup_id_x 1
		.amdhsa_system_sgpr_workgroup_id_y 0
		.amdhsa_system_sgpr_workgroup_id_z 1
		.amdhsa_system_sgpr_workgroup_info 0
		.amdhsa_system_vgpr_workitem_id 0
		.amdhsa_next_free_vgpr 16
		.amdhsa_next_free_sgpr 27
		.amdhsa_accum_offset 16
		.amdhsa_reserve_vcc 1
		.amdhsa_reserve_flat_scratch 0
		.amdhsa_float_round_mode_32 0
		.amdhsa_float_round_mode_16_64 0
		.amdhsa_float_denorm_mode_32 3
		.amdhsa_float_denorm_mode_16_64 3
		.amdhsa_dx10_clamp 1
		.amdhsa_ieee_mode 1
		.amdhsa_fp16_overflow 0
		.amdhsa_tg_split 0
		.amdhsa_exception_fp_ieee_invalid_op 0
		.amdhsa_exception_fp_denorm_src 0
		.amdhsa_exception_fp_ieee_div_zero 0
		.amdhsa_exception_fp_ieee_overflow 0
		.amdhsa_exception_fp_ieee_underflow 0
		.amdhsa_exception_fp_ieee_inexact 0
		.amdhsa_exception_int_div_zero 0
	.end_amdhsa_kernel
	.section	.text._ZN9rocsolver6v33100L18larfg_kernel_smallILi512EfifPfEEvT1_T3_llPT2_llS4_lS3_lPT0_l,"axG",@progbits,_ZN9rocsolver6v33100L18larfg_kernel_smallILi512EfifPfEEvT1_T3_llPT2_llS4_lS3_lPT0_l,comdat
.Lfunc_end3:
	.size	_ZN9rocsolver6v33100L18larfg_kernel_smallILi512EfifPfEEvT1_T3_llPT2_llS4_lS3_lPT0_l, .Lfunc_end3-_ZN9rocsolver6v33100L18larfg_kernel_smallILi512EfifPfEEvT1_T3_llPT2_llS4_lS3_lPT0_l
                                        ; -- End function
	.section	.AMDGPU.csdata,"",@progbits
; Kernel info:
; codeLenInByte = 1416
; NumSgprs: 31
; NumVgprs: 16
; NumAgprs: 0
; TotalNumVgprs: 16
; ScratchSize: 0
; MemoryBound: 0
; FloatMode: 240
; IeeeMode: 1
; LDSByteSize: 32 bytes/workgroup (compile time only)
; SGPRBlocks: 3
; VGPRBlocks: 1
; NumSGPRsForWavesPerEU: 31
; NumVGPRsForWavesPerEU: 16
; AccumOffset: 16
; Occupancy: 8
; WaveLimiterHint : 1
; COMPUTE_PGM_RSRC2:SCRATCH_EN: 0
; COMPUTE_PGM_RSRC2:USER_SGPR: 6
; COMPUTE_PGM_RSRC2:TRAP_HANDLER: 0
; COMPUTE_PGM_RSRC2:TGID_X_EN: 1
; COMPUTE_PGM_RSRC2:TGID_Y_EN: 0
; COMPUTE_PGM_RSRC2:TGID_Z_EN: 1
; COMPUTE_PGM_RSRC2:TIDIG_COMP_CNT: 0
; COMPUTE_PGM_RSRC3_GFX90A:ACCUM_OFFSET: 3
; COMPUTE_PGM_RSRC3_GFX90A:TG_SPLIT: 0
	.section	.text._ZN9rocsolver6v33100L18larfg_kernel_smallILi1024EfifPfEEvT1_T3_llPT2_llS4_lS3_lPT0_l,"axG",@progbits,_ZN9rocsolver6v33100L18larfg_kernel_smallILi1024EfifPfEEvT1_T3_llPT2_llS4_lS3_lPT0_l,comdat
	.globl	_ZN9rocsolver6v33100L18larfg_kernel_smallILi1024EfifPfEEvT1_T3_llPT2_llS4_lS3_lPT0_l ; -- Begin function _ZN9rocsolver6v33100L18larfg_kernel_smallILi1024EfifPfEEvT1_T3_llPT2_llS4_lS3_lPT0_l
	.p2align	8
	.type	_ZN9rocsolver6v33100L18larfg_kernel_smallILi1024EfifPfEEvT1_T3_llPT2_llS4_lS3_lPT0_l,@function
_ZN9rocsolver6v33100L18larfg_kernel_smallILi1024EfifPfEEvT1_T3_llPT2_llS4_lS3_lPT0_l: ; @_ZN9rocsolver6v33100L18larfg_kernel_smallILi1024EfifPfEEvT1_T3_llPT2_llS4_lS3_lPT0_l
; %bb.0:
	s_load_dwordx16 s[8:23], s[4:5], 0x8
	s_ashr_i32 s6, s7, 31
	s_mov_b64 s[24:25], 0
	s_waitcnt lgkmcnt(0)
	s_cmp_eq_u64 s[14:15], 0
	s_cbranch_scc1 .LBB4_2
; %bb.1:
	s_mul_i32 s0, s7, s19
	s_mul_hi_u32 s1, s7, s18
	s_add_i32 s0, s1, s0
	s_mul_i32 s1, s6, s18
	s_add_i32 s1, s0, s1
	s_mul_i32 s0, s7, s18
	s_lshl_b64 s[0:1], s[0:1], 2
	s_add_u32 s2, s14, s0
	s_addc_u32 s3, s15, s1
	s_lshl_b64 s[0:1], s[16:17], 2
	s_add_u32 s24, s2, s0
	s_addc_u32 s25, s3, s1
.LBB4_2:
	s_load_dwordx4 s[0:3], s[4:5], 0x50
	s_load_dword s19, s[4:5], 0x0
	s_load_dword s26, s[4:5], 0x48
	s_load_dwordx2 s[14:15], s[4:5], 0x60
	v_mov_b32_e32 v1, 0
	s_waitcnt lgkmcnt(0)
	s_mul_i32 s1, s7, s1
	s_mul_hi_u32 s4, s7, s0
	s_add_i32 s1, s4, s1
	s_mul_i32 s4, s6, s0
	s_add_i32 s1, s1, s4
	s_mul_i32 s0, s7, s0
	s_lshl_b64 s[0:1], s[0:1], 2
	s_add_u32 s4, s20, s0
	s_addc_u32 s5, s21, s1
	s_lshl_b64 s[0:1], s[22:23], 2
	s_add_u32 s18, s4, s0
	s_addc_u32 s20, s5, s1
	s_add_i32 s19, s19, -1
	v_cmp_gt_i32_e64 s[0:1], s19, v0
	v_mul_lo_u32 v2, v0, s26
	s_and_saveexec_b64 s[4:5], s[0:1]
	s_cbranch_execz .LBB4_6
; %bb.3:
	v_mul_lo_u32 v4, v0, s26
	s_lshl_b32 s21, s26, 10
	s_mov_b64 s[16:17], 0
	v_mov_b32_e32 v1, 0
	v_mov_b32_e32 v3, s20
	;; [unrolled: 1-line block ×3, first 2 shown]
.LBB4_4:                                ; =>This Inner Loop Header: Depth=1
	v_ashrrev_i32_e32 v5, 31, v4
	v_lshlrev_b64 v[8:9], 2, v[4:5]
	v_add_co_u32_e32 v8, vcc, s18, v8
	v_addc_co_u32_e32 v9, vcc, v3, v9, vcc
	global_load_dword v5, v[8:9], off
	v_add_u32_e32 v6, 0x400, v6
	v_cmp_le_i32_e32 vcc, s19, v6
	s_or_b64 s[16:17], vcc, s[16:17]
	v_add_u32_e32 v4, s21, v4
	s_waitcnt vmcnt(0)
	v_mul_f32_e32 v5, v5, v5
	v_add_f32_e32 v1, v1, v5
	s_andn2_b64 exec, exec, s[16:17]
	s_cbranch_execnz .LBB4_4
; %bb.5:
	s_or_b64 exec, exec, s[16:17]
.LBB4_6:
	s_or_b64 exec, exec, s[4:5]
	v_mbcnt_lo_u32_b32 v3, -1, 0
	v_mbcnt_hi_u32_b32 v3, -1, v3
	v_and_b32_e32 v4, 63, v3
	v_cmp_ne_u32_e32 vcc, 63, v4
	v_addc_co_u32_e32 v5, vcc, 0, v3, vcc
	v_lshlrev_b32_e32 v5, 2, v5
	ds_bpermute_b32 v5, v5, v1
	v_cmp_gt_u32_e32 vcc, 62, v4
	v_cndmask_b32_e64 v6, 0, 1, vcc
	v_cmp_gt_u32_e32 vcc, 60, v4
	s_waitcnt lgkmcnt(0)
	v_add_f32_e32 v1, v1, v5
	v_lshlrev_b32_e32 v5, 1, v6
	v_add_lshl_u32 v5, v5, v3, 2
	ds_bpermute_b32 v5, v5, v1
	v_cndmask_b32_e64 v6, 0, 1, vcc
	v_cmp_gt_u32_e32 vcc, 56, v4
	s_waitcnt lgkmcnt(0)
	v_add_f32_e32 v1, v1, v5
	v_lshlrev_b32_e32 v5, 2, v6
	v_add_lshl_u32 v5, v5, v3, 2
	ds_bpermute_b32 v5, v5, v1
	;; [unrolled: 7-line block ×3, first 2 shown]
	v_cndmask_b32_e64 v6, 0, 1, vcc
	v_cmp_gt_u32_e32 vcc, 32, v4
	v_cndmask_b32_e64 v4, 0, 1, vcc
	v_lshlrev_b32_e32 v4, 5, v4
	s_waitcnt lgkmcnt(0)
	v_add_f32_e32 v1, v1, v5
	v_lshlrev_b32_e32 v5, 4, v6
	v_add_lshl_u32 v5, v5, v3, 2
	ds_bpermute_b32 v5, v5, v1
	v_add_lshl_u32 v3, v4, v3, 2
	v_and_b32_e32 v4, 63, v0
	v_cmp_eq_u32_e32 vcc, 0, v4
	s_waitcnt lgkmcnt(0)
	v_add_f32_e32 v1, v1, v5
	ds_bpermute_b32 v3, v3, v1
	s_waitcnt lgkmcnt(0)
	v_add_f32_e32 v1, v1, v3
	s_and_saveexec_b64 s[4:5], vcc
	s_cbranch_execz .LBB4_8
; %bb.7:
	v_lshrrev_b32_e32 v3, 4, v0
	ds_write_b32 v3, v1
.LBB4_8:
	s_or_b64 exec, exec, s[4:5]
	v_cmp_eq_u32_e32 vcc, 0, v0
	s_waitcnt lgkmcnt(0)
	s_barrier
	s_and_saveexec_b64 s[4:5], vcc
	s_cbranch_execz .LBB4_10
; %bb.9:
	v_mov_b32_e32 v3, 0
	ds_read2_b32 v[4:5], v3 offset0:1 offset1:2
	ds_read2_b32 v[6:7], v3 offset0:3 offset1:4
	;; [unrolled: 1-line block ×4, first 2 shown]
	s_waitcnt lgkmcnt(3)
	v_add_f32_e32 v1, v1, v4
	v_add_f32_e32 v1, v1, v5
	s_waitcnt lgkmcnt(2)
	v_add_f32_e32 v1, v1, v6
	v_add_f32_e32 v1, v1, v7
	ds_read2_b32 v[4:5], v3 offset0:9 offset1:10
	s_waitcnt lgkmcnt(2)
	v_add_f32_e32 v1, v1, v8
	v_add_f32_e32 v1, v1, v9
	s_waitcnt lgkmcnt(1)
	v_add_f32_e32 v1, v1, v10
	v_add_f32_e32 v1, v1, v11
	ds_read2_b32 v[6:7], v3 offset0:11 offset1:12
	ds_read2_b32 v[8:9], v3 offset0:13 offset1:14
	ds_read_b32 v10, v3 offset:60
	s_waitcnt lgkmcnt(3)
	v_add_f32_e32 v1, v1, v4
	v_add_f32_e32 v1, v1, v5
	s_waitcnt lgkmcnt(2)
	v_add_f32_e32 v1, v1, v6
	v_add_f32_e32 v1, v1, v7
	s_waitcnt lgkmcnt(1)
	v_add_f32_e32 v1, v1, v8
	v_add_f32_e32 v1, v1, v9
	s_waitcnt lgkmcnt(0)
	v_add_f32_e32 v1, v1, v10
	ds_write_b32 v3, v1
.LBB4_10:
	s_or_b64 exec, exec, s[4:5]
	s_waitcnt lgkmcnt(0)
	s_barrier
	s_and_saveexec_b64 s[4:5], vcc
	s_cbranch_execz .LBB4_20
; %bb.11:
	s_mul_i32 s13, s7, s13
	s_mul_hi_u32 s16, s7, s12
	s_add_i32 s13, s16, s13
	s_mul_i32 s16, s6, s12
	s_add_i32 s13, s13, s16
	s_mul_i32 s12, s7, s12
	s_lshl_b64 s[12:13], s[12:13], 2
	s_add_u32 s12, s8, s12
	s_addc_u32 s13, s9, s13
	s_lshl_b64 s[8:9], s[10:11], 2
	s_add_u32 s8, s12, s8
	s_mul_i32 s10, s7, s15
	s_mul_hi_u32 s11, s7, s14
	s_addc_u32 s9, s13, s9
	s_add_i32 s10, s11, s10
	s_mul_i32 s6, s6, s14
	v_mov_b32_e32 v1, 0
	s_add_i32 s11, s10, s6
	s_mul_i32 s10, s7, s14
	ds_read_b32 v3, v1
	s_lshl_b64 s[6:7], s[10:11], 2
	s_add_u32 s6, s2, s6
	s_addc_u32 s7, s3, s7
	s_cmp_eq_u64 s[24:25], 0
	s_cselect_b64 s[2:3], -1, 0
	s_cmp_lg_u64 s[24:25], 0
	s_waitcnt lgkmcnt(0)
	v_cmp_nlt_f32_e32 vcc, 0, v3
	s_mov_b64 s[12:13], 0
	s_cselect_b64 s[10:11], -1, 0
	s_cbranch_vccz .LBB4_14
; %bb.12:
	v_mov_b32_e32 v4, 1.0
	s_mov_b64 s[16:17], 0
	s_and_b64 vcc, exec, s[10:11]
	ds_write_b32 v1, v4
	global_store_dword v1, v1, s[6:7]
	s_cbranch_vccz .LBB4_15
; %bb.13:
	v_mov_b32_e32 v1, 0
	global_load_dword v1, v1, s[8:9]
	s_mov_b64 s[14:15], -1
	s_and_b64 vcc, exec, s[16:17]
	s_cbranch_vccnz .LBB4_16
	s_branch .LBB4_17
.LBB4_14:
	s_mov_b64 s[16:17], -1
.LBB4_15:
	s_mov_b64 s[14:15], 0
                                        ; implicit-def: $vgpr1
	s_and_b64 vcc, exec, s[16:17]
	s_cbranch_vccz .LBB4_17
.LBB4_16:
	v_mov_b32_e32 v4, 0
	global_load_dword v5, v4, s[8:9]
	s_mov_b32 s12, 0xf800000
	v_mov_b32_e32 v6, 0x260
	s_mov_b64 s[14:15], s[10:11]
	s_waitcnt vmcnt(0)
	v_fmac_f32_e32 v3, v5, v5
	v_mul_f32_e32 v1, 0x4f800000, v3
	v_cmp_gt_f32_e32 vcc, s12, v3
	v_cndmask_b32_e32 v1, v3, v1, vcc
	v_sqrt_f32_e32 v3, v1
	s_mov_b64 s[12:13], s[2:3]
	v_add_u32_e32 v7, -1, v3
	v_add_u32_e32 v8, 1, v3
	v_fma_f32 v9, -v7, v3, v1
	v_fma_f32 v10, -v8, v3, v1
	v_cmp_ge_f32_e64 s[2:3], 0, v9
	v_cndmask_b32_e64 v3, v3, v7, s[2:3]
	v_cmp_lt_f32_e64 s[2:3], 0, v10
	v_cndmask_b32_e64 v3, v3, v8, s[2:3]
	v_mul_f32_e32 v7, 0x37800000, v3
	v_cndmask_b32_e32 v3, v3, v7, vcc
	v_cmp_class_f32_e32 vcc, v1, v6
	v_cndmask_b32_e32 v1, v3, v1, vcc
	v_cmp_le_f32_e32 vcc, 0, v5
	v_cndmask_b32_e64 v1, v1, -v1, vcc
	v_sub_f32_e32 v3, v5, v1
	v_sub_f32_e32 v5, v1, v5
	v_div_scale_f32 v6, s[2:3], v3, v3, 1.0
	v_div_scale_f32 v8, s[2:3], v1, v1, v5
	v_rcp_f32_e32 v9, v6
	v_rcp_f32_e32 v10, v8
	v_div_scale_f32 v7, vcc, 1.0, v3, 1.0
	v_fma_f32 v12, -v6, v9, 1.0
	v_fma_f32 v13, -v8, v10, 1.0
	v_fmac_f32_e32 v9, v12, v9
	v_div_scale_f32 v11, s[2:3], v5, v1, v5
	v_fmac_f32_e32 v10, v13, v10
	v_mul_f32_e32 v12, v7, v9
	v_mul_f32_e32 v13, v11, v10
	v_fma_f32 v14, -v6, v12, v7
	v_fma_f32 v15, -v8, v13, v11
	v_fmac_f32_e32 v12, v14, v9
	v_fmac_f32_e32 v13, v15, v10
	v_fma_f32 v6, -v6, v12, v7
	v_fma_f32 v7, -v8, v13, v11
	v_div_fmas_f32 v6, v6, v9, v12
	s_mov_b64 vcc, s[2:3]
	v_div_fixup_f32 v3, v6, v3, 1.0
	v_div_fmas_f32 v6, v7, v10, v13
	ds_write_b32 v4, v3
	v_div_fixup_f32 v3, v6, v1, v5
	global_store_dword v4, v3, s[6:7]
.LBB4_17:
	s_andn2_b64 vcc, exec, s[14:15]
	s_cbranch_vccz .LBB4_24
; %bb.18:
	s_andn2_b64 vcc, exec, s[12:13]
	s_cbranch_vccnz .LBB4_20
.LBB4_19:
	v_mov_b32_e32 v3, 0
	s_waitcnt vmcnt(0)
	global_store_dword v3, v1, s[8:9]
.LBB4_20:
	s_or_b64 exec, exec, s[4:5]
	s_waitcnt lgkmcnt(0)
	s_barrier
	s_and_saveexec_b64 s[2:3], s[0:1]
	s_cbranch_execz .LBB4_23
; %bb.21:
	s_waitcnt vmcnt(0)
	v_mov_b32_e32 v1, 0
	ds_read_b32 v1, v1
	s_lshl_b32 s2, s26, 10
	s_mov_b64 s[0:1], 0
	v_mov_b32_e32 v4, s20
.LBB4_22:                               ; =>This Inner Loop Header: Depth=1
	v_ashrrev_i32_e32 v3, 31, v2
	v_lshlrev_b64 v[6:7], 2, v[2:3]
	v_add_co_u32_e32 v6, vcc, s18, v6
	v_addc_co_u32_e32 v7, vcc, v4, v7, vcc
	global_load_dword v3, v[6:7], off
	v_add_u32_e32 v0, 0x400, v0
	v_cmp_le_i32_e32 vcc, s19, v0
	s_or_b64 s[0:1], vcc, s[0:1]
	v_add_u32_e32 v2, s2, v2
	s_waitcnt vmcnt(0) lgkmcnt(0)
	v_mul_f32_e32 v3, v1, v3
	global_store_dword v[6:7], v3, off
	s_andn2_b64 exec, exec, s[0:1]
	s_cbranch_execnz .LBB4_22
.LBB4_23:
	s_endpgm
.LBB4_24:
	v_pk_mov_b32 v[4:5], s[24:25], s[24:25] op_sel:[0,1]
	s_waitcnt vmcnt(0)
	flat_store_dword v[4:5], v1
	v_mov_b32_e32 v1, 1.0
	s_branch .LBB4_19
	.section	.rodata,"a",@progbits
	.p2align	6, 0x0
	.amdhsa_kernel _ZN9rocsolver6v33100L18larfg_kernel_smallILi1024EfifPfEEvT1_T3_llPT2_llS4_lS3_lPT0_l
		.amdhsa_group_segment_fixed_size 64
		.amdhsa_private_segment_fixed_size 0
		.amdhsa_kernarg_size 104
		.amdhsa_user_sgpr_count 6
		.amdhsa_user_sgpr_private_segment_buffer 1
		.amdhsa_user_sgpr_dispatch_ptr 0
		.amdhsa_user_sgpr_queue_ptr 0
		.amdhsa_user_sgpr_kernarg_segment_ptr 1
		.amdhsa_user_sgpr_dispatch_id 0
		.amdhsa_user_sgpr_flat_scratch_init 0
		.amdhsa_user_sgpr_kernarg_preload_length 0
		.amdhsa_user_sgpr_kernarg_preload_offset 0
		.amdhsa_user_sgpr_private_segment_size 0
		.amdhsa_uses_dynamic_stack 0
		.amdhsa_system_sgpr_private_segment_wavefront_offset 0
		.amdhsa_system_sgpr_workgroup_id_x 1
		.amdhsa_system_sgpr_workgroup_id_y 0
		.amdhsa_system_sgpr_workgroup_id_z 1
		.amdhsa_system_sgpr_workgroup_info 0
		.amdhsa_system_vgpr_workitem_id 0
		.amdhsa_next_free_vgpr 16
		.amdhsa_next_free_sgpr 27
		.amdhsa_accum_offset 16
		.amdhsa_reserve_vcc 1
		.amdhsa_reserve_flat_scratch 0
		.amdhsa_float_round_mode_32 0
		.amdhsa_float_round_mode_16_64 0
		.amdhsa_float_denorm_mode_32 3
		.amdhsa_float_denorm_mode_16_64 3
		.amdhsa_dx10_clamp 1
		.amdhsa_ieee_mode 1
		.amdhsa_fp16_overflow 0
		.amdhsa_tg_split 0
		.amdhsa_exception_fp_ieee_invalid_op 0
		.amdhsa_exception_fp_denorm_src 0
		.amdhsa_exception_fp_ieee_div_zero 0
		.amdhsa_exception_fp_ieee_overflow 0
		.amdhsa_exception_fp_ieee_underflow 0
		.amdhsa_exception_fp_ieee_inexact 0
		.amdhsa_exception_int_div_zero 0
	.end_amdhsa_kernel
	.section	.text._ZN9rocsolver6v33100L18larfg_kernel_smallILi1024EfifPfEEvT1_T3_llPT2_llS4_lS3_lPT0_l,"axG",@progbits,_ZN9rocsolver6v33100L18larfg_kernel_smallILi1024EfifPfEEvT1_T3_llPT2_llS4_lS3_lPT0_l,comdat
.Lfunc_end4:
	.size	_ZN9rocsolver6v33100L18larfg_kernel_smallILi1024EfifPfEEvT1_T3_llPT2_llS4_lS3_lPT0_l, .Lfunc_end4-_ZN9rocsolver6v33100L18larfg_kernel_smallILi1024EfifPfEEvT1_T3_llPT2_llS4_lS3_lPT0_l
                                        ; -- End function
	.section	.AMDGPU.csdata,"",@progbits
; Kernel info:
; codeLenInByte = 1496
; NumSgprs: 31
; NumVgprs: 16
; NumAgprs: 0
; TotalNumVgprs: 16
; ScratchSize: 0
; MemoryBound: 0
; FloatMode: 240
; IeeeMode: 1
; LDSByteSize: 64 bytes/workgroup (compile time only)
; SGPRBlocks: 3
; VGPRBlocks: 1
; NumSGPRsForWavesPerEU: 31
; NumVGPRsForWavesPerEU: 16
; AccumOffset: 16
; Occupancy: 8
; WaveLimiterHint : 1
; COMPUTE_PGM_RSRC2:SCRATCH_EN: 0
; COMPUTE_PGM_RSRC2:USER_SGPR: 6
; COMPUTE_PGM_RSRC2:TRAP_HANDLER: 0
; COMPUTE_PGM_RSRC2:TGID_X_EN: 1
; COMPUTE_PGM_RSRC2:TGID_Y_EN: 0
; COMPUTE_PGM_RSRC2:TGID_Z_EN: 1
; COMPUTE_PGM_RSRC2:TIDIG_COMP_CNT: 0
; COMPUTE_PGM_RSRC3_GFX90A:ACCUM_OFFSET: 3
; COMPUTE_PGM_RSRC3_GFX90A:TG_SPLIT: 0
	.section	.text._ZN9rocsolver6v33100L18larfg_kernel_smallILi64EfifPKPfEEvT1_T3_llPT2_llS6_lS5_lPT0_l,"axG",@progbits,_ZN9rocsolver6v33100L18larfg_kernel_smallILi64EfifPKPfEEvT1_T3_llPT2_llS6_lS5_lPT0_l,comdat
	.globl	_ZN9rocsolver6v33100L18larfg_kernel_smallILi64EfifPKPfEEvT1_T3_llPT2_llS6_lS5_lPT0_l ; -- Begin function _ZN9rocsolver6v33100L18larfg_kernel_smallILi64EfifPKPfEEvT1_T3_llPT2_llS6_lS5_lPT0_l
	.p2align	8
	.type	_ZN9rocsolver6v33100L18larfg_kernel_smallILi64EfifPKPfEEvT1_T3_llPT2_llS6_lS5_lPT0_l,@function
_ZN9rocsolver6v33100L18larfg_kernel_smallILi64EfifPKPfEEvT1_T3_llPT2_llS6_lS5_lPT0_l: ; @_ZN9rocsolver6v33100L18larfg_kernel_smallILi64EfifPKPfEEvT1_T3_llPT2_llS6_lS5_lPT0_l
; %bb.0:
	s_load_dwordx4 s[0:3], s[4:5], 0x8
	s_load_dwordx8 s[8:15], s[4:5], 0x20
	s_load_dwordx2 s[18:19], s[4:5], 0x40
	s_mov_b32 s16, s7
	s_ashr_i32 s17, s7, 31
	s_lshl_b64 s[6:7], s[16:17], 3
	s_waitcnt lgkmcnt(0)
	s_add_u32 s0, s0, s6
	s_addc_u32 s1, s1, s7
	s_add_u32 s6, s14, s6
	s_addc_u32 s7, s15, s7
	s_load_dwordx2 s[14:15], s[6:7], 0x0
	s_cmp_eq_u64 s[8:9], 0
	s_mov_b64 s[6:7], 0
	s_cbranch_scc1 .LBB5_2
; %bb.1:
	s_mul_i32 s6, s16, s13
	s_mul_hi_u32 s7, s16, s12
	s_add_i32 s6, s7, s6
	s_mul_i32 s7, s17, s12
	s_add_i32 s7, s6, s7
	s_mul_i32 s6, s16, s12
	s_lshl_b64 s[6:7], s[6:7], 2
	s_add_u32 s8, s8, s6
	s_addc_u32 s9, s9, s7
	s_lshl_b64 s[6:7], s[10:11], 2
	s_add_u32 s6, s8, s6
	s_addc_u32 s7, s9, s7
.LBB5_2:
	s_load_dwordx2 s[10:11], s[0:1], 0x0
	s_load_dword s21, s[4:5], 0x0
	s_load_dword s22, s[4:5], 0x48
	s_lshl_b64 s[0:1], s[18:19], 2
	s_waitcnt lgkmcnt(0)
	s_add_u32 s20, s14, s0
	s_addc_u32 s23, s15, s1
	s_add_i32 s21, s21, -1
	v_cmp_gt_i32_e64 s[0:1], s21, v0
	v_mov_b32_e32 v1, 0
	v_mul_lo_u32 v2, v0, s22
	s_and_saveexec_b64 s[8:9], s[0:1]
	s_cbranch_execz .LBB5_6
; %bb.3:
	v_mul_lo_u32 v4, v0, s22
	s_lshl_b32 s14, s22, 6
	s_mov_b64 s[12:13], 0
	v_mov_b32_e32 v1, 0
	v_mov_b32_e32 v3, s23
	;; [unrolled: 1-line block ×3, first 2 shown]
.LBB5_4:                                ; =>This Inner Loop Header: Depth=1
	v_ashrrev_i32_e32 v5, 31, v4
	v_lshlrev_b64 v[8:9], 2, v[4:5]
	v_add_co_u32_e32 v8, vcc, s20, v8
	v_addc_co_u32_e32 v9, vcc, v3, v9, vcc
	global_load_dword v5, v[8:9], off
	v_add_u32_e32 v6, 64, v6
	v_cmp_le_i32_e32 vcc, s21, v6
	s_or_b64 s[12:13], vcc, s[12:13]
	v_add_u32_e32 v4, s14, v4
	s_waitcnt vmcnt(0)
	v_mul_f32_e32 v5, v5, v5
	v_add_f32_e32 v1, v1, v5
	s_andn2_b64 exec, exec, s[12:13]
	s_cbranch_execnz .LBB5_4
; %bb.5:
	s_or_b64 exec, exec, s[12:13]
.LBB5_6:
	s_or_b64 exec, exec, s[8:9]
	v_mbcnt_lo_u32_b32 v3, -1, 0
	v_mbcnt_hi_u32_b32 v3, -1, v3
	v_and_b32_e32 v4, 63, v3
	v_cmp_ne_u32_e32 vcc, 63, v4
	v_addc_co_u32_e32 v5, vcc, 0, v3, vcc
	v_lshlrev_b32_e32 v5, 2, v5
	ds_bpermute_b32 v5, v5, v1
	v_cmp_gt_u32_e32 vcc, 62, v4
	v_cndmask_b32_e64 v6, 0, 1, vcc
	v_cmp_gt_u32_e32 vcc, 60, v4
	s_waitcnt lgkmcnt(0)
	v_add_f32_e32 v1, v1, v5
	v_lshlrev_b32_e32 v5, 1, v6
	v_add_lshl_u32 v5, v5, v3, 2
	ds_bpermute_b32 v5, v5, v1
	v_cndmask_b32_e64 v6, 0, 1, vcc
	v_cmp_gt_u32_e32 vcc, 56, v4
	s_waitcnt lgkmcnt(0)
	v_add_f32_e32 v1, v1, v5
	v_lshlrev_b32_e32 v5, 2, v6
	v_add_lshl_u32 v5, v5, v3, 2
	ds_bpermute_b32 v5, v5, v1
	;; [unrolled: 7-line block ×3, first 2 shown]
	v_cndmask_b32_e64 v6, 0, 1, vcc
	v_cmp_gt_u32_e32 vcc, 32, v4
	v_cndmask_b32_e64 v4, 0, 1, vcc
	v_lshlrev_b32_e32 v4, 5, v4
	s_waitcnt lgkmcnt(0)
	v_add_f32_e32 v1, v1, v5
	v_lshlrev_b32_e32 v5, 4, v6
	v_add_lshl_u32 v5, v5, v3, 2
	ds_bpermute_b32 v5, v5, v1
	v_add_lshl_u32 v3, v4, v3, 2
	v_cmp_eq_u32_e32 vcc, 0, v0
	s_waitcnt lgkmcnt(0)
	v_add_f32_e32 v1, v1, v5
	ds_bpermute_b32 v3, v3, v1
	s_waitcnt lgkmcnt(0)
	v_add_f32_e32 v1, v1, v3
	s_and_saveexec_b64 s[8:9], vcc
	s_cbranch_execz .LBB5_8
; %bb.7:
	v_mov_b32_e32 v3, 0
	ds_write_b32 v3, v1
.LBB5_8:
	s_or_b64 exec, exec, s[8:9]
	v_cmp_eq_u32_e32 vcc, 0, v0
	s_waitcnt lgkmcnt(0)
	; wave barrier
	s_waitcnt lgkmcnt(0)
	s_and_saveexec_b64 s[8:9], vcc
	s_cbranch_execz .LBB5_10
; %bb.9:
	v_mov_b32_e32 v3, 0
	ds_write_b32 v3, v1
.LBB5_10:
	s_or_b64 exec, exec, s[8:9]
	s_waitcnt lgkmcnt(0)
	; wave barrier
	s_waitcnt lgkmcnt(0)
	s_and_saveexec_b64 s[8:9], vcc
	s_cbranch_execz .LBB5_20
; %bb.11:
	s_load_dwordx4 s[12:15], s[4:5], 0x58
	s_lshl_b64 s[2:3], s[2:3], 2
	s_add_u32 s4, s10, s2
	s_addc_u32 s5, s11, s3
	v_mov_b32_e32 v1, 0
	s_waitcnt lgkmcnt(0)
	s_mul_i32 s2, s16, s15
	s_mul_hi_u32 s3, s16, s14
	s_add_i32 s2, s3, s2
	s_mul_i32 s3, s17, s14
	s_add_i32 s3, s2, s3
	s_mul_i32 s2, s16, s14
	ds_read_b32 v3, v1
	s_lshl_b64 s[2:3], s[2:3], 2
	s_add_u32 s10, s12, s2
	s_addc_u32 s11, s13, s3
	s_cmp_eq_u64 s[6:7], 0
	s_cselect_b64 s[2:3], -1, 0
	s_cmp_lg_u64 s[6:7], 0
	s_waitcnt lgkmcnt(0)
	v_cmp_nlt_f32_e32 vcc, 0, v3
	s_mov_b64 s[14:15], 0
	s_cselect_b64 s[12:13], -1, 0
	s_cbranch_vccz .LBB5_14
; %bb.12:
	v_mov_b32_e32 v4, 1.0
	s_mov_b64 s[18:19], 0
	s_and_b64 vcc, exec, s[12:13]
	ds_write_b32 v1, v4
	global_store_dword v1, v1, s[10:11]
	s_cbranch_vccz .LBB5_15
; %bb.13:
	v_mov_b32_e32 v1, 0
	global_load_dword v1, v1, s[4:5]
	s_mov_b64 s[16:17], -1
	s_and_b64 vcc, exec, s[18:19]
	s_cbranch_vccnz .LBB5_16
	s_branch .LBB5_17
.LBB5_14:
	s_mov_b64 s[18:19], -1
.LBB5_15:
	s_mov_b64 s[16:17], 0
                                        ; implicit-def: $vgpr1
	s_and_b64 vcc, exec, s[18:19]
	s_cbranch_vccz .LBB5_17
.LBB5_16:
	v_mov_b32_e32 v4, 0
	global_load_dword v5, v4, s[4:5]
	s_mov_b32 s14, 0xf800000
	v_mov_b32_e32 v6, 0x260
	s_mov_b64 s[16:17], s[12:13]
	s_waitcnt vmcnt(0)
	v_fmac_f32_e32 v3, v5, v5
	v_mul_f32_e32 v1, 0x4f800000, v3
	v_cmp_gt_f32_e32 vcc, s14, v3
	v_cndmask_b32_e32 v1, v3, v1, vcc
	v_sqrt_f32_e32 v3, v1
	s_mov_b64 s[14:15], s[2:3]
	v_add_u32_e32 v7, -1, v3
	v_add_u32_e32 v8, 1, v3
	v_fma_f32 v9, -v7, v3, v1
	v_fma_f32 v10, -v8, v3, v1
	v_cmp_ge_f32_e64 s[2:3], 0, v9
	v_cndmask_b32_e64 v3, v3, v7, s[2:3]
	v_cmp_lt_f32_e64 s[2:3], 0, v10
	v_cndmask_b32_e64 v3, v3, v8, s[2:3]
	v_mul_f32_e32 v7, 0x37800000, v3
	v_cndmask_b32_e32 v3, v3, v7, vcc
	v_cmp_class_f32_e32 vcc, v1, v6
	v_cndmask_b32_e32 v1, v3, v1, vcc
	v_cmp_le_f32_e32 vcc, 0, v5
	v_cndmask_b32_e64 v1, v1, -v1, vcc
	v_sub_f32_e32 v3, v5, v1
	v_sub_f32_e32 v5, v1, v5
	v_div_scale_f32 v6, s[2:3], v3, v3, 1.0
	v_div_scale_f32 v8, s[2:3], v1, v1, v5
	v_rcp_f32_e32 v9, v6
	v_rcp_f32_e32 v10, v8
	v_div_scale_f32 v7, vcc, 1.0, v3, 1.0
	v_fma_f32 v12, -v6, v9, 1.0
	v_fma_f32 v13, -v8, v10, 1.0
	v_fmac_f32_e32 v9, v12, v9
	v_div_scale_f32 v11, s[2:3], v5, v1, v5
	v_fmac_f32_e32 v10, v13, v10
	v_mul_f32_e32 v12, v7, v9
	v_mul_f32_e32 v13, v11, v10
	v_fma_f32 v14, -v6, v12, v7
	v_fma_f32 v15, -v8, v13, v11
	v_fmac_f32_e32 v12, v14, v9
	v_fmac_f32_e32 v13, v15, v10
	v_fma_f32 v6, -v6, v12, v7
	v_fma_f32 v7, -v8, v13, v11
	v_div_fmas_f32 v6, v6, v9, v12
	s_mov_b64 vcc, s[2:3]
	v_div_fixup_f32 v3, v6, v3, 1.0
	v_div_fmas_f32 v6, v7, v10, v13
	ds_write_b32 v4, v3
	v_div_fixup_f32 v3, v6, v1, v5
	global_store_dword v4, v3, s[10:11]
.LBB5_17:
	s_andn2_b64 vcc, exec, s[16:17]
	s_cbranch_vccz .LBB5_24
; %bb.18:
	s_andn2_b64 vcc, exec, s[14:15]
	s_cbranch_vccnz .LBB5_20
.LBB5_19:
	v_mov_b32_e32 v3, 0
	s_waitcnt vmcnt(0)
	global_store_dword v3, v1, s[4:5]
.LBB5_20:
	s_or_b64 exec, exec, s[8:9]
	s_waitcnt lgkmcnt(0)
	; wave barrier
	s_waitcnt lgkmcnt(0)
	s_and_saveexec_b64 s[2:3], s[0:1]
	s_cbranch_execz .LBB5_23
; %bb.21:
	s_waitcnt vmcnt(0)
	v_mov_b32_e32 v1, 0
	ds_read_b32 v1, v1
	s_lshl_b32 s2, s22, 6
	s_mov_b64 s[0:1], 0
	v_mov_b32_e32 v4, s23
.LBB5_22:                               ; =>This Inner Loop Header: Depth=1
	v_ashrrev_i32_e32 v3, 31, v2
	v_lshlrev_b64 v[6:7], 2, v[2:3]
	v_add_co_u32_e32 v6, vcc, s20, v6
	v_addc_co_u32_e32 v7, vcc, v4, v7, vcc
	global_load_dword v3, v[6:7], off
	v_add_u32_e32 v0, 64, v0
	v_cmp_le_i32_e32 vcc, s21, v0
	s_or_b64 s[0:1], vcc, s[0:1]
	v_add_u32_e32 v2, s2, v2
	s_waitcnt vmcnt(0) lgkmcnt(0)
	v_mul_f32_e32 v3, v1, v3
	global_store_dword v[6:7], v3, off
	s_andn2_b64 exec, exec, s[0:1]
	s_cbranch_execnz .LBB5_22
.LBB5_23:
	s_endpgm
.LBB5_24:
	v_pk_mov_b32 v[4:5], s[6:7], s[6:7] op_sel:[0,1]
	s_waitcnt vmcnt(0)
	flat_store_dword v[4:5], v1
	v_mov_b32_e32 v1, 1.0
	s_branch .LBB5_19
	.section	.rodata,"a",@progbits
	.p2align	6, 0x0
	.amdhsa_kernel _ZN9rocsolver6v33100L18larfg_kernel_smallILi64EfifPKPfEEvT1_T3_llPT2_llS6_lS5_lPT0_l
		.amdhsa_group_segment_fixed_size 4
		.amdhsa_private_segment_fixed_size 0
		.amdhsa_kernarg_size 104
		.amdhsa_user_sgpr_count 6
		.amdhsa_user_sgpr_private_segment_buffer 1
		.amdhsa_user_sgpr_dispatch_ptr 0
		.amdhsa_user_sgpr_queue_ptr 0
		.amdhsa_user_sgpr_kernarg_segment_ptr 1
		.amdhsa_user_sgpr_dispatch_id 0
		.amdhsa_user_sgpr_flat_scratch_init 0
		.amdhsa_user_sgpr_kernarg_preload_length 0
		.amdhsa_user_sgpr_kernarg_preload_offset 0
		.amdhsa_user_sgpr_private_segment_size 0
		.amdhsa_uses_dynamic_stack 0
		.amdhsa_system_sgpr_private_segment_wavefront_offset 0
		.amdhsa_system_sgpr_workgroup_id_x 1
		.amdhsa_system_sgpr_workgroup_id_y 0
		.amdhsa_system_sgpr_workgroup_id_z 1
		.amdhsa_system_sgpr_workgroup_info 0
		.amdhsa_system_vgpr_workitem_id 0
		.amdhsa_next_free_vgpr 16
		.amdhsa_next_free_sgpr 24
		.amdhsa_accum_offset 16
		.amdhsa_reserve_vcc 1
		.amdhsa_reserve_flat_scratch 0
		.amdhsa_float_round_mode_32 0
		.amdhsa_float_round_mode_16_64 0
		.amdhsa_float_denorm_mode_32 3
		.amdhsa_float_denorm_mode_16_64 3
		.amdhsa_dx10_clamp 1
		.amdhsa_ieee_mode 1
		.amdhsa_fp16_overflow 0
		.amdhsa_tg_split 0
		.amdhsa_exception_fp_ieee_invalid_op 0
		.amdhsa_exception_fp_denorm_src 0
		.amdhsa_exception_fp_ieee_div_zero 0
		.amdhsa_exception_fp_ieee_overflow 0
		.amdhsa_exception_fp_ieee_underflow 0
		.amdhsa_exception_fp_ieee_inexact 0
		.amdhsa_exception_int_div_zero 0
	.end_amdhsa_kernel
	.section	.text._ZN9rocsolver6v33100L18larfg_kernel_smallILi64EfifPKPfEEvT1_T3_llPT2_llS6_lS5_lPT0_l,"axG",@progbits,_ZN9rocsolver6v33100L18larfg_kernel_smallILi64EfifPKPfEEvT1_T3_llPT2_llS6_lS5_lPT0_l,comdat
.Lfunc_end5:
	.size	_ZN9rocsolver6v33100L18larfg_kernel_smallILi64EfifPKPfEEvT1_T3_llPT2_llS6_lS5_lPT0_l, .Lfunc_end5-_ZN9rocsolver6v33100L18larfg_kernel_smallILi64EfifPKPfEEvT1_T3_llPT2_llS6_lS5_lPT0_l
                                        ; -- End function
	.section	.AMDGPU.csdata,"",@progbits
; Kernel info:
; codeLenInByte = 1308
; NumSgprs: 28
; NumVgprs: 16
; NumAgprs: 0
; TotalNumVgprs: 16
; ScratchSize: 0
; MemoryBound: 0
; FloatMode: 240
; IeeeMode: 1
; LDSByteSize: 4 bytes/workgroup (compile time only)
; SGPRBlocks: 3
; VGPRBlocks: 1
; NumSGPRsForWavesPerEU: 28
; NumVGPRsForWavesPerEU: 16
; AccumOffset: 16
; Occupancy: 8
; WaveLimiterHint : 1
; COMPUTE_PGM_RSRC2:SCRATCH_EN: 0
; COMPUTE_PGM_RSRC2:USER_SGPR: 6
; COMPUTE_PGM_RSRC2:TRAP_HANDLER: 0
; COMPUTE_PGM_RSRC2:TGID_X_EN: 1
; COMPUTE_PGM_RSRC2:TGID_Y_EN: 0
; COMPUTE_PGM_RSRC2:TGID_Z_EN: 1
; COMPUTE_PGM_RSRC2:TIDIG_COMP_CNT: 0
; COMPUTE_PGM_RSRC3_GFX90A:ACCUM_OFFSET: 3
; COMPUTE_PGM_RSRC3_GFX90A:TG_SPLIT: 0
	.section	.text._ZN9rocsolver6v33100L18larfg_kernel_smallILi128EfifPKPfEEvT1_T3_llPT2_llS6_lS5_lPT0_l,"axG",@progbits,_ZN9rocsolver6v33100L18larfg_kernel_smallILi128EfifPKPfEEvT1_T3_llPT2_llS6_lS5_lPT0_l,comdat
	.globl	_ZN9rocsolver6v33100L18larfg_kernel_smallILi128EfifPKPfEEvT1_T3_llPT2_llS6_lS5_lPT0_l ; -- Begin function _ZN9rocsolver6v33100L18larfg_kernel_smallILi128EfifPKPfEEvT1_T3_llPT2_llS6_lS5_lPT0_l
	.p2align	8
	.type	_ZN9rocsolver6v33100L18larfg_kernel_smallILi128EfifPKPfEEvT1_T3_llPT2_llS6_lS5_lPT0_l,@function
_ZN9rocsolver6v33100L18larfg_kernel_smallILi128EfifPKPfEEvT1_T3_llPT2_llS6_lS5_lPT0_l: ; @_ZN9rocsolver6v33100L18larfg_kernel_smallILi128EfifPKPfEEvT1_T3_llPT2_llS6_lS5_lPT0_l
; %bb.0:
	s_load_dwordx4 s[0:3], s[4:5], 0x8
	s_load_dwordx8 s[8:15], s[4:5], 0x20
	s_load_dwordx2 s[18:19], s[4:5], 0x40
	s_mov_b32 s16, s7
	s_ashr_i32 s17, s7, 31
	s_lshl_b64 s[6:7], s[16:17], 3
	s_waitcnt lgkmcnt(0)
	s_add_u32 s0, s0, s6
	s_addc_u32 s1, s1, s7
	s_add_u32 s6, s14, s6
	s_addc_u32 s7, s15, s7
	s_load_dwordx2 s[14:15], s[6:7], 0x0
	s_cmp_eq_u64 s[8:9], 0
	s_mov_b64 s[6:7], 0
	s_cbranch_scc1 .LBB6_2
; %bb.1:
	s_mul_i32 s6, s16, s13
	s_mul_hi_u32 s7, s16, s12
	s_add_i32 s6, s7, s6
	s_mul_i32 s7, s17, s12
	s_add_i32 s7, s6, s7
	s_mul_i32 s6, s16, s12
	s_lshl_b64 s[6:7], s[6:7], 2
	s_add_u32 s8, s8, s6
	s_addc_u32 s9, s9, s7
	s_lshl_b64 s[6:7], s[10:11], 2
	s_add_u32 s6, s8, s6
	s_addc_u32 s7, s9, s7
.LBB6_2:
	s_load_dwordx2 s[10:11], s[0:1], 0x0
	s_load_dword s21, s[4:5], 0x0
	s_load_dword s22, s[4:5], 0x48
	s_lshl_b64 s[0:1], s[18:19], 2
	s_waitcnt lgkmcnt(0)
	s_add_u32 s20, s14, s0
	s_addc_u32 s23, s15, s1
	s_add_i32 s21, s21, -1
	v_cmp_gt_i32_e64 s[0:1], s21, v0
	v_mov_b32_e32 v1, 0
	v_mul_lo_u32 v2, v0, s22
	s_and_saveexec_b64 s[8:9], s[0:1]
	s_cbranch_execz .LBB6_6
; %bb.3:
	v_mul_lo_u32 v4, v0, s22
	s_lshl_b32 s14, s22, 7
	s_mov_b64 s[12:13], 0
	v_mov_b32_e32 v1, 0
	v_mov_b32_e32 v3, s23
	;; [unrolled: 1-line block ×3, first 2 shown]
.LBB6_4:                                ; =>This Inner Loop Header: Depth=1
	v_ashrrev_i32_e32 v5, 31, v4
	v_lshlrev_b64 v[8:9], 2, v[4:5]
	v_add_co_u32_e32 v8, vcc, s20, v8
	v_addc_co_u32_e32 v9, vcc, v3, v9, vcc
	global_load_dword v5, v[8:9], off
	v_add_u32_e32 v6, 0x80, v6
	v_cmp_le_i32_e32 vcc, s21, v6
	s_or_b64 s[12:13], vcc, s[12:13]
	v_add_u32_e32 v4, s14, v4
	s_waitcnt vmcnt(0)
	v_mul_f32_e32 v5, v5, v5
	v_add_f32_e32 v1, v1, v5
	s_andn2_b64 exec, exec, s[12:13]
	s_cbranch_execnz .LBB6_4
; %bb.5:
	s_or_b64 exec, exec, s[12:13]
.LBB6_6:
	s_or_b64 exec, exec, s[8:9]
	v_mbcnt_lo_u32_b32 v3, -1, 0
	v_mbcnt_hi_u32_b32 v3, -1, v3
	v_and_b32_e32 v4, 63, v3
	v_cmp_ne_u32_e32 vcc, 63, v4
	v_addc_co_u32_e32 v5, vcc, 0, v3, vcc
	v_lshlrev_b32_e32 v5, 2, v5
	ds_bpermute_b32 v5, v5, v1
	v_cmp_gt_u32_e32 vcc, 62, v4
	v_cndmask_b32_e64 v6, 0, 1, vcc
	v_cmp_gt_u32_e32 vcc, 60, v4
	s_waitcnt lgkmcnt(0)
	v_add_f32_e32 v1, v1, v5
	v_lshlrev_b32_e32 v5, 1, v6
	v_add_lshl_u32 v5, v5, v3, 2
	ds_bpermute_b32 v5, v5, v1
	v_cndmask_b32_e64 v6, 0, 1, vcc
	v_cmp_gt_u32_e32 vcc, 56, v4
	s_waitcnt lgkmcnt(0)
	v_add_f32_e32 v1, v1, v5
	v_lshlrev_b32_e32 v5, 2, v6
	v_add_lshl_u32 v5, v5, v3, 2
	ds_bpermute_b32 v5, v5, v1
	;; [unrolled: 7-line block ×3, first 2 shown]
	v_cndmask_b32_e64 v6, 0, 1, vcc
	v_cmp_gt_u32_e32 vcc, 32, v4
	v_cndmask_b32_e64 v4, 0, 1, vcc
	v_lshlrev_b32_e32 v4, 5, v4
	s_waitcnt lgkmcnt(0)
	v_add_f32_e32 v1, v1, v5
	v_lshlrev_b32_e32 v5, 4, v6
	v_add_lshl_u32 v5, v5, v3, 2
	ds_bpermute_b32 v5, v5, v1
	v_add_lshl_u32 v3, v4, v3, 2
	v_and_b32_e32 v4, 63, v0
	v_cmp_eq_u32_e32 vcc, 0, v4
	s_waitcnt lgkmcnt(0)
	v_add_f32_e32 v1, v1, v5
	ds_bpermute_b32 v3, v3, v1
	s_waitcnt lgkmcnt(0)
	v_add_f32_e32 v1, v1, v3
	s_and_saveexec_b64 s[8:9], vcc
	s_cbranch_execz .LBB6_8
; %bb.7:
	v_lshrrev_b32_e32 v3, 4, v0
	ds_write_b32 v3, v1
.LBB6_8:
	s_or_b64 exec, exec, s[8:9]
	v_cmp_eq_u32_e32 vcc, 0, v0
	s_waitcnt lgkmcnt(0)
	s_barrier
	s_and_saveexec_b64 s[8:9], vcc
	s_cbranch_execz .LBB6_10
; %bb.9:
	v_mov_b32_e32 v3, 0
	ds_read_b32 v4, v3 offset:4
	s_waitcnt lgkmcnt(0)
	v_add_f32_e32 v1, v1, v4
	ds_write_b32 v3, v1
.LBB6_10:
	s_or_b64 exec, exec, s[8:9]
	s_waitcnt lgkmcnt(0)
	s_barrier
	s_and_saveexec_b64 s[8:9], vcc
	s_cbranch_execz .LBB6_20
; %bb.11:
	s_load_dwordx4 s[12:15], s[4:5], 0x58
	s_lshl_b64 s[2:3], s[2:3], 2
	s_add_u32 s4, s10, s2
	s_addc_u32 s5, s11, s3
	v_mov_b32_e32 v1, 0
	s_waitcnt lgkmcnt(0)
	s_mul_i32 s2, s16, s15
	s_mul_hi_u32 s3, s16, s14
	s_add_i32 s2, s3, s2
	s_mul_i32 s3, s17, s14
	s_add_i32 s3, s2, s3
	s_mul_i32 s2, s16, s14
	ds_read_b32 v3, v1
	s_lshl_b64 s[2:3], s[2:3], 2
	s_add_u32 s10, s12, s2
	s_addc_u32 s11, s13, s3
	s_cmp_eq_u64 s[6:7], 0
	s_cselect_b64 s[2:3], -1, 0
	s_cmp_lg_u64 s[6:7], 0
	s_waitcnt lgkmcnt(0)
	v_cmp_nlt_f32_e32 vcc, 0, v3
	s_mov_b64 s[14:15], 0
	s_cselect_b64 s[12:13], -1, 0
	s_cbranch_vccz .LBB6_14
; %bb.12:
	v_mov_b32_e32 v4, 1.0
	s_mov_b64 s[18:19], 0
	s_and_b64 vcc, exec, s[12:13]
	ds_write_b32 v1, v4
	global_store_dword v1, v1, s[10:11]
	s_cbranch_vccz .LBB6_15
; %bb.13:
	v_mov_b32_e32 v1, 0
	global_load_dword v1, v1, s[4:5]
	s_mov_b64 s[16:17], -1
	s_and_b64 vcc, exec, s[18:19]
	s_cbranch_vccnz .LBB6_16
	s_branch .LBB6_17
.LBB6_14:
	s_mov_b64 s[18:19], -1
.LBB6_15:
	s_mov_b64 s[16:17], 0
                                        ; implicit-def: $vgpr1
	s_and_b64 vcc, exec, s[18:19]
	s_cbranch_vccz .LBB6_17
.LBB6_16:
	v_mov_b32_e32 v4, 0
	global_load_dword v5, v4, s[4:5]
	s_mov_b32 s14, 0xf800000
	v_mov_b32_e32 v6, 0x260
	s_mov_b64 s[16:17], s[12:13]
	s_waitcnt vmcnt(0)
	v_fmac_f32_e32 v3, v5, v5
	v_mul_f32_e32 v1, 0x4f800000, v3
	v_cmp_gt_f32_e32 vcc, s14, v3
	v_cndmask_b32_e32 v1, v3, v1, vcc
	v_sqrt_f32_e32 v3, v1
	s_mov_b64 s[14:15], s[2:3]
	v_add_u32_e32 v7, -1, v3
	v_add_u32_e32 v8, 1, v3
	v_fma_f32 v9, -v7, v3, v1
	v_fma_f32 v10, -v8, v3, v1
	v_cmp_ge_f32_e64 s[2:3], 0, v9
	v_cndmask_b32_e64 v3, v3, v7, s[2:3]
	v_cmp_lt_f32_e64 s[2:3], 0, v10
	v_cndmask_b32_e64 v3, v3, v8, s[2:3]
	v_mul_f32_e32 v7, 0x37800000, v3
	v_cndmask_b32_e32 v3, v3, v7, vcc
	v_cmp_class_f32_e32 vcc, v1, v6
	v_cndmask_b32_e32 v1, v3, v1, vcc
	v_cmp_le_f32_e32 vcc, 0, v5
	v_cndmask_b32_e64 v1, v1, -v1, vcc
	v_sub_f32_e32 v3, v5, v1
	v_sub_f32_e32 v5, v1, v5
	v_div_scale_f32 v6, s[2:3], v3, v3, 1.0
	v_div_scale_f32 v8, s[2:3], v1, v1, v5
	v_rcp_f32_e32 v9, v6
	v_rcp_f32_e32 v10, v8
	v_div_scale_f32 v7, vcc, 1.0, v3, 1.0
	v_fma_f32 v12, -v6, v9, 1.0
	v_fma_f32 v13, -v8, v10, 1.0
	v_fmac_f32_e32 v9, v12, v9
	v_div_scale_f32 v11, s[2:3], v5, v1, v5
	v_fmac_f32_e32 v10, v13, v10
	v_mul_f32_e32 v12, v7, v9
	v_mul_f32_e32 v13, v11, v10
	v_fma_f32 v14, -v6, v12, v7
	v_fma_f32 v15, -v8, v13, v11
	v_fmac_f32_e32 v12, v14, v9
	v_fmac_f32_e32 v13, v15, v10
	v_fma_f32 v6, -v6, v12, v7
	v_fma_f32 v7, -v8, v13, v11
	v_div_fmas_f32 v6, v6, v9, v12
	s_mov_b64 vcc, s[2:3]
	v_div_fixup_f32 v3, v6, v3, 1.0
	v_div_fmas_f32 v6, v7, v10, v13
	ds_write_b32 v4, v3
	v_div_fixup_f32 v3, v6, v1, v5
	global_store_dword v4, v3, s[10:11]
.LBB6_17:
	s_andn2_b64 vcc, exec, s[16:17]
	s_cbranch_vccz .LBB6_24
; %bb.18:
	s_andn2_b64 vcc, exec, s[14:15]
	s_cbranch_vccnz .LBB6_20
.LBB6_19:
	v_mov_b32_e32 v3, 0
	s_waitcnt vmcnt(0)
	global_store_dword v3, v1, s[4:5]
.LBB6_20:
	s_or_b64 exec, exec, s[8:9]
	s_waitcnt lgkmcnt(0)
	s_barrier
	s_and_saveexec_b64 s[2:3], s[0:1]
	s_cbranch_execz .LBB6_23
; %bb.21:
	s_waitcnt vmcnt(0)
	v_mov_b32_e32 v1, 0
	ds_read_b32 v1, v1
	s_lshl_b32 s2, s22, 7
	s_mov_b64 s[0:1], 0
	v_mov_b32_e32 v4, s23
.LBB6_22:                               ; =>This Inner Loop Header: Depth=1
	v_ashrrev_i32_e32 v3, 31, v2
	v_lshlrev_b64 v[6:7], 2, v[2:3]
	v_add_co_u32_e32 v6, vcc, s20, v6
	v_addc_co_u32_e32 v7, vcc, v4, v7, vcc
	global_load_dword v3, v[6:7], off
	v_add_u32_e32 v0, 0x80, v0
	v_cmp_le_i32_e32 vcc, s21, v0
	s_or_b64 s[0:1], vcc, s[0:1]
	v_add_u32_e32 v2, s2, v2
	s_waitcnt vmcnt(0) lgkmcnt(0)
	v_mul_f32_e32 v3, v1, v3
	global_store_dword v[6:7], v3, off
	s_andn2_b64 exec, exec, s[0:1]
	s_cbranch_execnz .LBB6_22
.LBB6_23:
	s_endpgm
.LBB6_24:
	v_pk_mov_b32 v[4:5], s[6:7], s[6:7] op_sel:[0,1]
	s_waitcnt vmcnt(0)
	flat_store_dword v[4:5], v1
	v_mov_b32_e32 v1, 1.0
	s_branch .LBB6_19
	.section	.rodata,"a",@progbits
	.p2align	6, 0x0
	.amdhsa_kernel _ZN9rocsolver6v33100L18larfg_kernel_smallILi128EfifPKPfEEvT1_T3_llPT2_llS6_lS5_lPT0_l
		.amdhsa_group_segment_fixed_size 8
		.amdhsa_private_segment_fixed_size 0
		.amdhsa_kernarg_size 104
		.amdhsa_user_sgpr_count 6
		.amdhsa_user_sgpr_private_segment_buffer 1
		.amdhsa_user_sgpr_dispatch_ptr 0
		.amdhsa_user_sgpr_queue_ptr 0
		.amdhsa_user_sgpr_kernarg_segment_ptr 1
		.amdhsa_user_sgpr_dispatch_id 0
		.amdhsa_user_sgpr_flat_scratch_init 0
		.amdhsa_user_sgpr_kernarg_preload_length 0
		.amdhsa_user_sgpr_kernarg_preload_offset 0
		.amdhsa_user_sgpr_private_segment_size 0
		.amdhsa_uses_dynamic_stack 0
		.amdhsa_system_sgpr_private_segment_wavefront_offset 0
		.amdhsa_system_sgpr_workgroup_id_x 1
		.amdhsa_system_sgpr_workgroup_id_y 0
		.amdhsa_system_sgpr_workgroup_id_z 1
		.amdhsa_system_sgpr_workgroup_info 0
		.amdhsa_system_vgpr_workitem_id 0
		.amdhsa_next_free_vgpr 16
		.amdhsa_next_free_sgpr 24
		.amdhsa_accum_offset 16
		.amdhsa_reserve_vcc 1
		.amdhsa_reserve_flat_scratch 0
		.amdhsa_float_round_mode_32 0
		.amdhsa_float_round_mode_16_64 0
		.amdhsa_float_denorm_mode_32 3
		.amdhsa_float_denorm_mode_16_64 3
		.amdhsa_dx10_clamp 1
		.amdhsa_ieee_mode 1
		.amdhsa_fp16_overflow 0
		.amdhsa_tg_split 0
		.amdhsa_exception_fp_ieee_invalid_op 0
		.amdhsa_exception_fp_denorm_src 0
		.amdhsa_exception_fp_ieee_div_zero 0
		.amdhsa_exception_fp_ieee_overflow 0
		.amdhsa_exception_fp_ieee_underflow 0
		.amdhsa_exception_fp_ieee_inexact 0
		.amdhsa_exception_int_div_zero 0
	.end_amdhsa_kernel
	.section	.text._ZN9rocsolver6v33100L18larfg_kernel_smallILi128EfifPKPfEEvT1_T3_llPT2_llS6_lS5_lPT0_l,"axG",@progbits,_ZN9rocsolver6v33100L18larfg_kernel_smallILi128EfifPKPfEEvT1_T3_llPT2_llS6_lS5_lPT0_l,comdat
.Lfunc_end6:
	.size	_ZN9rocsolver6v33100L18larfg_kernel_smallILi128EfifPKPfEEvT1_T3_llPT2_llS6_lS5_lPT0_l, .Lfunc_end6-_ZN9rocsolver6v33100L18larfg_kernel_smallILi128EfifPKPfEEvT1_T3_llPT2_llS6_lS5_lPT0_l
                                        ; -- End function
	.section	.AMDGPU.csdata,"",@progbits
; Kernel info:
; codeLenInByte = 1336
; NumSgprs: 28
; NumVgprs: 16
; NumAgprs: 0
; TotalNumVgprs: 16
; ScratchSize: 0
; MemoryBound: 0
; FloatMode: 240
; IeeeMode: 1
; LDSByteSize: 8 bytes/workgroup (compile time only)
; SGPRBlocks: 3
; VGPRBlocks: 1
; NumSGPRsForWavesPerEU: 28
; NumVGPRsForWavesPerEU: 16
; AccumOffset: 16
; Occupancy: 8
; WaveLimiterHint : 1
; COMPUTE_PGM_RSRC2:SCRATCH_EN: 0
; COMPUTE_PGM_RSRC2:USER_SGPR: 6
; COMPUTE_PGM_RSRC2:TRAP_HANDLER: 0
; COMPUTE_PGM_RSRC2:TGID_X_EN: 1
; COMPUTE_PGM_RSRC2:TGID_Y_EN: 0
; COMPUTE_PGM_RSRC2:TGID_Z_EN: 1
; COMPUTE_PGM_RSRC2:TIDIG_COMP_CNT: 0
; COMPUTE_PGM_RSRC3_GFX90A:ACCUM_OFFSET: 3
; COMPUTE_PGM_RSRC3_GFX90A:TG_SPLIT: 0
	.section	.text._ZN9rocsolver6v33100L18larfg_kernel_smallILi256EfifPKPfEEvT1_T3_llPT2_llS6_lS5_lPT0_l,"axG",@progbits,_ZN9rocsolver6v33100L18larfg_kernel_smallILi256EfifPKPfEEvT1_T3_llPT2_llS6_lS5_lPT0_l,comdat
	.globl	_ZN9rocsolver6v33100L18larfg_kernel_smallILi256EfifPKPfEEvT1_T3_llPT2_llS6_lS5_lPT0_l ; -- Begin function _ZN9rocsolver6v33100L18larfg_kernel_smallILi256EfifPKPfEEvT1_T3_llPT2_llS6_lS5_lPT0_l
	.p2align	8
	.type	_ZN9rocsolver6v33100L18larfg_kernel_smallILi256EfifPKPfEEvT1_T3_llPT2_llS6_lS5_lPT0_l,@function
_ZN9rocsolver6v33100L18larfg_kernel_smallILi256EfifPKPfEEvT1_T3_llPT2_llS6_lS5_lPT0_l: ; @_ZN9rocsolver6v33100L18larfg_kernel_smallILi256EfifPKPfEEvT1_T3_llPT2_llS6_lS5_lPT0_l
; %bb.0:
	s_load_dwordx4 s[0:3], s[4:5], 0x8
	s_load_dwordx8 s[8:15], s[4:5], 0x20
	s_load_dwordx2 s[18:19], s[4:5], 0x40
	s_mov_b32 s16, s7
	s_ashr_i32 s17, s7, 31
	s_lshl_b64 s[6:7], s[16:17], 3
	s_waitcnt lgkmcnt(0)
	s_add_u32 s0, s0, s6
	s_addc_u32 s1, s1, s7
	s_add_u32 s6, s14, s6
	s_addc_u32 s7, s15, s7
	s_load_dwordx2 s[14:15], s[6:7], 0x0
	s_cmp_eq_u64 s[8:9], 0
	s_mov_b64 s[6:7], 0
	s_cbranch_scc1 .LBB7_2
; %bb.1:
	s_mul_i32 s6, s16, s13
	s_mul_hi_u32 s7, s16, s12
	s_add_i32 s6, s7, s6
	s_mul_i32 s7, s17, s12
	s_add_i32 s7, s6, s7
	s_mul_i32 s6, s16, s12
	s_lshl_b64 s[6:7], s[6:7], 2
	s_add_u32 s8, s8, s6
	s_addc_u32 s9, s9, s7
	s_lshl_b64 s[6:7], s[10:11], 2
	s_add_u32 s6, s8, s6
	s_addc_u32 s7, s9, s7
.LBB7_2:
	s_load_dwordx2 s[10:11], s[0:1], 0x0
	s_load_dword s21, s[4:5], 0x0
	s_load_dword s22, s[4:5], 0x48
	s_lshl_b64 s[0:1], s[18:19], 2
	s_waitcnt lgkmcnt(0)
	s_add_u32 s20, s14, s0
	s_addc_u32 s23, s15, s1
	s_add_i32 s21, s21, -1
	v_cmp_gt_i32_e64 s[0:1], s21, v0
	v_mov_b32_e32 v1, 0
	v_mul_lo_u32 v2, v0, s22
	s_and_saveexec_b64 s[8:9], s[0:1]
	s_cbranch_execz .LBB7_6
; %bb.3:
	v_mul_lo_u32 v4, v0, s22
	s_lshl_b32 s14, s22, 8
	s_mov_b64 s[12:13], 0
	v_mov_b32_e32 v1, 0
	v_mov_b32_e32 v3, s23
	;; [unrolled: 1-line block ×3, first 2 shown]
.LBB7_4:                                ; =>This Inner Loop Header: Depth=1
	v_ashrrev_i32_e32 v5, 31, v4
	v_lshlrev_b64 v[8:9], 2, v[4:5]
	v_add_co_u32_e32 v8, vcc, s20, v8
	v_addc_co_u32_e32 v9, vcc, v3, v9, vcc
	global_load_dword v5, v[8:9], off
	v_add_u32_e32 v6, 0x100, v6
	v_cmp_le_i32_e32 vcc, s21, v6
	s_or_b64 s[12:13], vcc, s[12:13]
	v_add_u32_e32 v4, s14, v4
	s_waitcnt vmcnt(0)
	v_mul_f32_e32 v5, v5, v5
	v_add_f32_e32 v1, v1, v5
	s_andn2_b64 exec, exec, s[12:13]
	s_cbranch_execnz .LBB7_4
; %bb.5:
	s_or_b64 exec, exec, s[12:13]
.LBB7_6:
	s_or_b64 exec, exec, s[8:9]
	v_mbcnt_lo_u32_b32 v3, -1, 0
	v_mbcnt_hi_u32_b32 v3, -1, v3
	v_and_b32_e32 v4, 63, v3
	v_cmp_ne_u32_e32 vcc, 63, v4
	v_addc_co_u32_e32 v5, vcc, 0, v3, vcc
	v_lshlrev_b32_e32 v5, 2, v5
	ds_bpermute_b32 v5, v5, v1
	v_cmp_gt_u32_e32 vcc, 62, v4
	v_cndmask_b32_e64 v6, 0, 1, vcc
	v_cmp_gt_u32_e32 vcc, 60, v4
	s_waitcnt lgkmcnt(0)
	v_add_f32_e32 v1, v1, v5
	v_lshlrev_b32_e32 v5, 1, v6
	v_add_lshl_u32 v5, v5, v3, 2
	ds_bpermute_b32 v5, v5, v1
	v_cndmask_b32_e64 v6, 0, 1, vcc
	v_cmp_gt_u32_e32 vcc, 56, v4
	s_waitcnt lgkmcnt(0)
	v_add_f32_e32 v1, v1, v5
	v_lshlrev_b32_e32 v5, 2, v6
	v_add_lshl_u32 v5, v5, v3, 2
	ds_bpermute_b32 v5, v5, v1
	;; [unrolled: 7-line block ×3, first 2 shown]
	v_cndmask_b32_e64 v6, 0, 1, vcc
	v_cmp_gt_u32_e32 vcc, 32, v4
	v_cndmask_b32_e64 v4, 0, 1, vcc
	v_lshlrev_b32_e32 v4, 5, v4
	s_waitcnt lgkmcnt(0)
	v_add_f32_e32 v1, v1, v5
	v_lshlrev_b32_e32 v5, 4, v6
	v_add_lshl_u32 v5, v5, v3, 2
	ds_bpermute_b32 v5, v5, v1
	v_add_lshl_u32 v3, v4, v3, 2
	v_and_b32_e32 v4, 63, v0
	v_cmp_eq_u32_e32 vcc, 0, v4
	s_waitcnt lgkmcnt(0)
	v_add_f32_e32 v1, v1, v5
	ds_bpermute_b32 v3, v3, v1
	s_waitcnt lgkmcnt(0)
	v_add_f32_e32 v1, v1, v3
	s_and_saveexec_b64 s[8:9], vcc
	s_cbranch_execz .LBB7_8
; %bb.7:
	v_lshrrev_b32_e32 v3, 4, v0
	ds_write_b32 v3, v1
.LBB7_8:
	s_or_b64 exec, exec, s[8:9]
	v_cmp_eq_u32_e32 vcc, 0, v0
	s_waitcnt lgkmcnt(0)
	s_barrier
	s_and_saveexec_b64 s[8:9], vcc
	s_cbranch_execz .LBB7_10
; %bb.9:
	v_mov_b32_e32 v3, 0
	ds_read2_b32 v[4:5], v3 offset0:1 offset1:2
	ds_read_b32 v6, v3 offset:12
	s_waitcnt lgkmcnt(1)
	v_add_f32_e32 v1, v1, v4
	v_add_f32_e32 v1, v1, v5
	s_waitcnt lgkmcnt(0)
	v_add_f32_e32 v1, v1, v6
	ds_write_b32 v3, v1
.LBB7_10:
	s_or_b64 exec, exec, s[8:9]
	s_waitcnt lgkmcnt(0)
	s_barrier
	s_and_saveexec_b64 s[8:9], vcc
	s_cbranch_execz .LBB7_20
; %bb.11:
	s_load_dwordx4 s[12:15], s[4:5], 0x58
	s_lshl_b64 s[2:3], s[2:3], 2
	s_add_u32 s4, s10, s2
	s_addc_u32 s5, s11, s3
	v_mov_b32_e32 v1, 0
	s_waitcnt lgkmcnt(0)
	s_mul_i32 s2, s16, s15
	s_mul_hi_u32 s3, s16, s14
	s_add_i32 s2, s3, s2
	s_mul_i32 s3, s17, s14
	s_add_i32 s3, s2, s3
	s_mul_i32 s2, s16, s14
	ds_read_b32 v3, v1
	s_lshl_b64 s[2:3], s[2:3], 2
	s_add_u32 s10, s12, s2
	s_addc_u32 s11, s13, s3
	s_cmp_eq_u64 s[6:7], 0
	s_cselect_b64 s[2:3], -1, 0
	s_cmp_lg_u64 s[6:7], 0
	s_waitcnt lgkmcnt(0)
	v_cmp_nlt_f32_e32 vcc, 0, v3
	s_mov_b64 s[14:15], 0
	s_cselect_b64 s[12:13], -1, 0
	s_cbranch_vccz .LBB7_14
; %bb.12:
	v_mov_b32_e32 v4, 1.0
	s_mov_b64 s[18:19], 0
	s_and_b64 vcc, exec, s[12:13]
	ds_write_b32 v1, v4
	global_store_dword v1, v1, s[10:11]
	s_cbranch_vccz .LBB7_15
; %bb.13:
	v_mov_b32_e32 v1, 0
	global_load_dword v1, v1, s[4:5]
	s_mov_b64 s[16:17], -1
	s_and_b64 vcc, exec, s[18:19]
	s_cbranch_vccnz .LBB7_16
	s_branch .LBB7_17
.LBB7_14:
	s_mov_b64 s[18:19], -1
.LBB7_15:
	s_mov_b64 s[16:17], 0
                                        ; implicit-def: $vgpr1
	s_and_b64 vcc, exec, s[18:19]
	s_cbranch_vccz .LBB7_17
.LBB7_16:
	v_mov_b32_e32 v4, 0
	global_load_dword v5, v4, s[4:5]
	s_mov_b32 s14, 0xf800000
	v_mov_b32_e32 v6, 0x260
	s_mov_b64 s[16:17], s[12:13]
	s_waitcnt vmcnt(0)
	v_fmac_f32_e32 v3, v5, v5
	v_mul_f32_e32 v1, 0x4f800000, v3
	v_cmp_gt_f32_e32 vcc, s14, v3
	v_cndmask_b32_e32 v1, v3, v1, vcc
	v_sqrt_f32_e32 v3, v1
	s_mov_b64 s[14:15], s[2:3]
	v_add_u32_e32 v7, -1, v3
	v_add_u32_e32 v8, 1, v3
	v_fma_f32 v9, -v7, v3, v1
	v_fma_f32 v10, -v8, v3, v1
	v_cmp_ge_f32_e64 s[2:3], 0, v9
	v_cndmask_b32_e64 v3, v3, v7, s[2:3]
	v_cmp_lt_f32_e64 s[2:3], 0, v10
	v_cndmask_b32_e64 v3, v3, v8, s[2:3]
	v_mul_f32_e32 v7, 0x37800000, v3
	v_cndmask_b32_e32 v3, v3, v7, vcc
	v_cmp_class_f32_e32 vcc, v1, v6
	v_cndmask_b32_e32 v1, v3, v1, vcc
	v_cmp_le_f32_e32 vcc, 0, v5
	v_cndmask_b32_e64 v1, v1, -v1, vcc
	v_sub_f32_e32 v3, v5, v1
	v_sub_f32_e32 v5, v1, v5
	v_div_scale_f32 v6, s[2:3], v3, v3, 1.0
	v_div_scale_f32 v8, s[2:3], v1, v1, v5
	v_rcp_f32_e32 v9, v6
	v_rcp_f32_e32 v10, v8
	v_div_scale_f32 v7, vcc, 1.0, v3, 1.0
	v_fma_f32 v12, -v6, v9, 1.0
	v_fma_f32 v13, -v8, v10, 1.0
	v_fmac_f32_e32 v9, v12, v9
	v_div_scale_f32 v11, s[2:3], v5, v1, v5
	v_fmac_f32_e32 v10, v13, v10
	v_mul_f32_e32 v12, v7, v9
	v_mul_f32_e32 v13, v11, v10
	v_fma_f32 v14, -v6, v12, v7
	v_fma_f32 v15, -v8, v13, v11
	v_fmac_f32_e32 v12, v14, v9
	v_fmac_f32_e32 v13, v15, v10
	v_fma_f32 v6, -v6, v12, v7
	v_fma_f32 v7, -v8, v13, v11
	v_div_fmas_f32 v6, v6, v9, v12
	s_mov_b64 vcc, s[2:3]
	v_div_fixup_f32 v3, v6, v3, 1.0
	v_div_fmas_f32 v6, v7, v10, v13
	ds_write_b32 v4, v3
	v_div_fixup_f32 v3, v6, v1, v5
	global_store_dword v4, v3, s[10:11]
.LBB7_17:
	s_andn2_b64 vcc, exec, s[16:17]
	s_cbranch_vccz .LBB7_24
; %bb.18:
	s_andn2_b64 vcc, exec, s[14:15]
	s_cbranch_vccnz .LBB7_20
.LBB7_19:
	v_mov_b32_e32 v3, 0
	s_waitcnt vmcnt(0)
	global_store_dword v3, v1, s[4:5]
.LBB7_20:
	s_or_b64 exec, exec, s[8:9]
	s_waitcnt lgkmcnt(0)
	s_barrier
	s_and_saveexec_b64 s[2:3], s[0:1]
	s_cbranch_execz .LBB7_23
; %bb.21:
	s_waitcnt vmcnt(0)
	v_mov_b32_e32 v1, 0
	ds_read_b32 v1, v1
	s_lshl_b32 s2, s22, 8
	s_mov_b64 s[0:1], 0
	v_mov_b32_e32 v4, s23
.LBB7_22:                               ; =>This Inner Loop Header: Depth=1
	v_ashrrev_i32_e32 v3, 31, v2
	v_lshlrev_b64 v[6:7], 2, v[2:3]
	v_add_co_u32_e32 v6, vcc, s20, v6
	v_addc_co_u32_e32 v7, vcc, v4, v7, vcc
	global_load_dword v3, v[6:7], off
	v_add_u32_e32 v0, 0x100, v0
	v_cmp_le_i32_e32 vcc, s21, v0
	s_or_b64 s[0:1], vcc, s[0:1]
	v_add_u32_e32 v2, s2, v2
	s_waitcnt vmcnt(0) lgkmcnt(0)
	v_mul_f32_e32 v3, v1, v3
	global_store_dword v[6:7], v3, off
	s_andn2_b64 exec, exec, s[0:1]
	s_cbranch_execnz .LBB7_22
.LBB7_23:
	s_endpgm
.LBB7_24:
	v_pk_mov_b32 v[4:5], s[6:7], s[6:7] op_sel:[0,1]
	s_waitcnt vmcnt(0)
	flat_store_dword v[4:5], v1
	v_mov_b32_e32 v1, 1.0
	s_branch .LBB7_19
	.section	.rodata,"a",@progbits
	.p2align	6, 0x0
	.amdhsa_kernel _ZN9rocsolver6v33100L18larfg_kernel_smallILi256EfifPKPfEEvT1_T3_llPT2_llS6_lS5_lPT0_l
		.amdhsa_group_segment_fixed_size 16
		.amdhsa_private_segment_fixed_size 0
		.amdhsa_kernarg_size 104
		.amdhsa_user_sgpr_count 6
		.amdhsa_user_sgpr_private_segment_buffer 1
		.amdhsa_user_sgpr_dispatch_ptr 0
		.amdhsa_user_sgpr_queue_ptr 0
		.amdhsa_user_sgpr_kernarg_segment_ptr 1
		.amdhsa_user_sgpr_dispatch_id 0
		.amdhsa_user_sgpr_flat_scratch_init 0
		.amdhsa_user_sgpr_kernarg_preload_length 0
		.amdhsa_user_sgpr_kernarg_preload_offset 0
		.amdhsa_user_sgpr_private_segment_size 0
		.amdhsa_uses_dynamic_stack 0
		.amdhsa_system_sgpr_private_segment_wavefront_offset 0
		.amdhsa_system_sgpr_workgroup_id_x 1
		.amdhsa_system_sgpr_workgroup_id_y 0
		.amdhsa_system_sgpr_workgroup_id_z 1
		.amdhsa_system_sgpr_workgroup_info 0
		.amdhsa_system_vgpr_workitem_id 0
		.amdhsa_next_free_vgpr 16
		.amdhsa_next_free_sgpr 24
		.amdhsa_accum_offset 16
		.amdhsa_reserve_vcc 1
		.amdhsa_reserve_flat_scratch 0
		.amdhsa_float_round_mode_32 0
		.amdhsa_float_round_mode_16_64 0
		.amdhsa_float_denorm_mode_32 3
		.amdhsa_float_denorm_mode_16_64 3
		.amdhsa_dx10_clamp 1
		.amdhsa_ieee_mode 1
		.amdhsa_fp16_overflow 0
		.amdhsa_tg_split 0
		.amdhsa_exception_fp_ieee_invalid_op 0
		.amdhsa_exception_fp_denorm_src 0
		.amdhsa_exception_fp_ieee_div_zero 0
		.amdhsa_exception_fp_ieee_overflow 0
		.amdhsa_exception_fp_ieee_underflow 0
		.amdhsa_exception_fp_ieee_inexact 0
		.amdhsa_exception_int_div_zero 0
	.end_amdhsa_kernel
	.section	.text._ZN9rocsolver6v33100L18larfg_kernel_smallILi256EfifPKPfEEvT1_T3_llPT2_llS6_lS5_lPT0_l,"axG",@progbits,_ZN9rocsolver6v33100L18larfg_kernel_smallILi256EfifPKPfEEvT1_T3_llPT2_llS6_lS5_lPT0_l,comdat
.Lfunc_end7:
	.size	_ZN9rocsolver6v33100L18larfg_kernel_smallILi256EfifPKPfEEvT1_T3_llPT2_llS6_lS5_lPT0_l, .Lfunc_end7-_ZN9rocsolver6v33100L18larfg_kernel_smallILi256EfifPKPfEEvT1_T3_llPT2_llS6_lS5_lPT0_l
                                        ; -- End function
	.section	.AMDGPU.csdata,"",@progbits
; Kernel info:
; codeLenInByte = 1356
; NumSgprs: 28
; NumVgprs: 16
; NumAgprs: 0
; TotalNumVgprs: 16
; ScratchSize: 0
; MemoryBound: 0
; FloatMode: 240
; IeeeMode: 1
; LDSByteSize: 16 bytes/workgroup (compile time only)
; SGPRBlocks: 3
; VGPRBlocks: 1
; NumSGPRsForWavesPerEU: 28
; NumVGPRsForWavesPerEU: 16
; AccumOffset: 16
; Occupancy: 8
; WaveLimiterHint : 1
; COMPUTE_PGM_RSRC2:SCRATCH_EN: 0
; COMPUTE_PGM_RSRC2:USER_SGPR: 6
; COMPUTE_PGM_RSRC2:TRAP_HANDLER: 0
; COMPUTE_PGM_RSRC2:TGID_X_EN: 1
; COMPUTE_PGM_RSRC2:TGID_Y_EN: 0
; COMPUTE_PGM_RSRC2:TGID_Z_EN: 1
; COMPUTE_PGM_RSRC2:TIDIG_COMP_CNT: 0
; COMPUTE_PGM_RSRC3_GFX90A:ACCUM_OFFSET: 3
; COMPUTE_PGM_RSRC3_GFX90A:TG_SPLIT: 0
	.section	.text._ZN9rocsolver6v33100L18larfg_kernel_smallILi512EfifPKPfEEvT1_T3_llPT2_llS6_lS5_lPT0_l,"axG",@progbits,_ZN9rocsolver6v33100L18larfg_kernel_smallILi512EfifPKPfEEvT1_T3_llPT2_llS6_lS5_lPT0_l,comdat
	.globl	_ZN9rocsolver6v33100L18larfg_kernel_smallILi512EfifPKPfEEvT1_T3_llPT2_llS6_lS5_lPT0_l ; -- Begin function _ZN9rocsolver6v33100L18larfg_kernel_smallILi512EfifPKPfEEvT1_T3_llPT2_llS6_lS5_lPT0_l
	.p2align	8
	.type	_ZN9rocsolver6v33100L18larfg_kernel_smallILi512EfifPKPfEEvT1_T3_llPT2_llS6_lS5_lPT0_l,@function
_ZN9rocsolver6v33100L18larfg_kernel_smallILi512EfifPKPfEEvT1_T3_llPT2_llS6_lS5_lPT0_l: ; @_ZN9rocsolver6v33100L18larfg_kernel_smallILi512EfifPKPfEEvT1_T3_llPT2_llS6_lS5_lPT0_l
; %bb.0:
	s_load_dwordx4 s[0:3], s[4:5], 0x8
	s_load_dwordx8 s[8:15], s[4:5], 0x20
	s_load_dwordx2 s[18:19], s[4:5], 0x40
	s_mov_b32 s16, s7
	s_ashr_i32 s17, s7, 31
	s_lshl_b64 s[6:7], s[16:17], 3
	s_waitcnt lgkmcnt(0)
	s_add_u32 s0, s0, s6
	s_addc_u32 s1, s1, s7
	s_add_u32 s6, s14, s6
	s_addc_u32 s7, s15, s7
	s_load_dwordx2 s[14:15], s[6:7], 0x0
	s_cmp_eq_u64 s[8:9], 0
	s_mov_b64 s[6:7], 0
	s_cbranch_scc1 .LBB8_2
; %bb.1:
	s_mul_i32 s6, s16, s13
	s_mul_hi_u32 s7, s16, s12
	s_add_i32 s6, s7, s6
	s_mul_i32 s7, s17, s12
	s_add_i32 s7, s6, s7
	s_mul_i32 s6, s16, s12
	s_lshl_b64 s[6:7], s[6:7], 2
	s_add_u32 s8, s8, s6
	s_addc_u32 s9, s9, s7
	s_lshl_b64 s[6:7], s[10:11], 2
	s_add_u32 s6, s8, s6
	s_addc_u32 s7, s9, s7
.LBB8_2:
	s_load_dwordx2 s[10:11], s[0:1], 0x0
	s_load_dword s21, s[4:5], 0x0
	s_load_dword s22, s[4:5], 0x48
	s_lshl_b64 s[0:1], s[18:19], 2
	s_waitcnt lgkmcnt(0)
	s_add_u32 s20, s14, s0
	s_addc_u32 s23, s15, s1
	s_add_i32 s21, s21, -1
	v_cmp_gt_i32_e64 s[0:1], s21, v0
	v_mov_b32_e32 v1, 0
	v_mul_lo_u32 v2, v0, s22
	s_and_saveexec_b64 s[8:9], s[0:1]
	s_cbranch_execz .LBB8_6
; %bb.3:
	v_mul_lo_u32 v4, v0, s22
	s_lshl_b32 s14, s22, 9
	s_mov_b64 s[12:13], 0
	v_mov_b32_e32 v1, 0
	v_mov_b32_e32 v3, s23
	v_mov_b32_e32 v6, v0
.LBB8_4:                                ; =>This Inner Loop Header: Depth=1
	v_ashrrev_i32_e32 v5, 31, v4
	v_lshlrev_b64 v[8:9], 2, v[4:5]
	v_add_co_u32_e32 v8, vcc, s20, v8
	v_addc_co_u32_e32 v9, vcc, v3, v9, vcc
	global_load_dword v5, v[8:9], off
	v_add_u32_e32 v6, 0x200, v6
	v_cmp_le_i32_e32 vcc, s21, v6
	s_or_b64 s[12:13], vcc, s[12:13]
	v_add_u32_e32 v4, s14, v4
	s_waitcnt vmcnt(0)
	v_mul_f32_e32 v5, v5, v5
	v_add_f32_e32 v1, v1, v5
	s_andn2_b64 exec, exec, s[12:13]
	s_cbranch_execnz .LBB8_4
; %bb.5:
	s_or_b64 exec, exec, s[12:13]
.LBB8_6:
	s_or_b64 exec, exec, s[8:9]
	v_mbcnt_lo_u32_b32 v3, -1, 0
	v_mbcnt_hi_u32_b32 v3, -1, v3
	v_and_b32_e32 v4, 63, v3
	v_cmp_ne_u32_e32 vcc, 63, v4
	v_addc_co_u32_e32 v5, vcc, 0, v3, vcc
	v_lshlrev_b32_e32 v5, 2, v5
	ds_bpermute_b32 v5, v5, v1
	v_cmp_gt_u32_e32 vcc, 62, v4
	v_cndmask_b32_e64 v6, 0, 1, vcc
	v_cmp_gt_u32_e32 vcc, 60, v4
	s_waitcnt lgkmcnt(0)
	v_add_f32_e32 v1, v1, v5
	v_lshlrev_b32_e32 v5, 1, v6
	v_add_lshl_u32 v5, v5, v3, 2
	ds_bpermute_b32 v5, v5, v1
	v_cndmask_b32_e64 v6, 0, 1, vcc
	v_cmp_gt_u32_e32 vcc, 56, v4
	s_waitcnt lgkmcnt(0)
	v_add_f32_e32 v1, v1, v5
	v_lshlrev_b32_e32 v5, 2, v6
	v_add_lshl_u32 v5, v5, v3, 2
	ds_bpermute_b32 v5, v5, v1
	;; [unrolled: 7-line block ×3, first 2 shown]
	v_cndmask_b32_e64 v6, 0, 1, vcc
	v_cmp_gt_u32_e32 vcc, 32, v4
	v_cndmask_b32_e64 v4, 0, 1, vcc
	v_lshlrev_b32_e32 v4, 5, v4
	s_waitcnt lgkmcnt(0)
	v_add_f32_e32 v1, v1, v5
	v_lshlrev_b32_e32 v5, 4, v6
	v_add_lshl_u32 v5, v5, v3, 2
	ds_bpermute_b32 v5, v5, v1
	v_add_lshl_u32 v3, v4, v3, 2
	v_and_b32_e32 v4, 63, v0
	v_cmp_eq_u32_e32 vcc, 0, v4
	s_waitcnt lgkmcnt(0)
	v_add_f32_e32 v1, v1, v5
	ds_bpermute_b32 v3, v3, v1
	s_waitcnt lgkmcnt(0)
	v_add_f32_e32 v1, v1, v3
	s_and_saveexec_b64 s[8:9], vcc
	s_cbranch_execz .LBB8_8
; %bb.7:
	v_lshrrev_b32_e32 v3, 4, v0
	ds_write_b32 v3, v1
.LBB8_8:
	s_or_b64 exec, exec, s[8:9]
	v_cmp_eq_u32_e32 vcc, 0, v0
	s_waitcnt lgkmcnt(0)
	s_barrier
	s_and_saveexec_b64 s[8:9], vcc
	s_cbranch_execz .LBB8_10
; %bb.9:
	v_mov_b32_e32 v3, 0
	ds_read2_b32 v[4:5], v3 offset0:1 offset1:2
	ds_read2_b32 v[6:7], v3 offset0:3 offset1:4
	;; [unrolled: 1-line block ×3, first 2 shown]
	ds_read_b32 v10, v3 offset:28
	s_waitcnt lgkmcnt(3)
	v_add_f32_e32 v1, v1, v4
	v_add_f32_e32 v1, v1, v5
	s_waitcnt lgkmcnt(2)
	v_add_f32_e32 v1, v1, v6
	v_add_f32_e32 v1, v1, v7
	;; [unrolled: 3-line block ×3, first 2 shown]
	s_waitcnt lgkmcnt(0)
	v_add_f32_e32 v1, v1, v10
	ds_write_b32 v3, v1
.LBB8_10:
	s_or_b64 exec, exec, s[8:9]
	s_waitcnt lgkmcnt(0)
	s_barrier
	s_and_saveexec_b64 s[8:9], vcc
	s_cbranch_execz .LBB8_20
; %bb.11:
	s_load_dwordx4 s[12:15], s[4:5], 0x58
	s_lshl_b64 s[2:3], s[2:3], 2
	s_add_u32 s4, s10, s2
	s_addc_u32 s5, s11, s3
	v_mov_b32_e32 v1, 0
	s_waitcnt lgkmcnt(0)
	s_mul_i32 s2, s16, s15
	s_mul_hi_u32 s3, s16, s14
	s_add_i32 s2, s3, s2
	s_mul_i32 s3, s17, s14
	s_add_i32 s3, s2, s3
	s_mul_i32 s2, s16, s14
	ds_read_b32 v3, v1
	s_lshl_b64 s[2:3], s[2:3], 2
	s_add_u32 s10, s12, s2
	s_addc_u32 s11, s13, s3
	s_cmp_eq_u64 s[6:7], 0
	s_cselect_b64 s[2:3], -1, 0
	s_cmp_lg_u64 s[6:7], 0
	s_waitcnt lgkmcnt(0)
	v_cmp_nlt_f32_e32 vcc, 0, v3
	s_mov_b64 s[14:15], 0
	s_cselect_b64 s[12:13], -1, 0
	s_cbranch_vccz .LBB8_14
; %bb.12:
	v_mov_b32_e32 v4, 1.0
	s_mov_b64 s[18:19], 0
	s_and_b64 vcc, exec, s[12:13]
	ds_write_b32 v1, v4
	global_store_dword v1, v1, s[10:11]
	s_cbranch_vccz .LBB8_15
; %bb.13:
	v_mov_b32_e32 v1, 0
	global_load_dword v1, v1, s[4:5]
	s_mov_b64 s[16:17], -1
	s_and_b64 vcc, exec, s[18:19]
	s_cbranch_vccnz .LBB8_16
	s_branch .LBB8_17
.LBB8_14:
	s_mov_b64 s[18:19], -1
.LBB8_15:
	s_mov_b64 s[16:17], 0
                                        ; implicit-def: $vgpr1
	s_and_b64 vcc, exec, s[18:19]
	s_cbranch_vccz .LBB8_17
.LBB8_16:
	v_mov_b32_e32 v4, 0
	global_load_dword v5, v4, s[4:5]
	s_mov_b32 s14, 0xf800000
	v_mov_b32_e32 v6, 0x260
	s_mov_b64 s[16:17], s[12:13]
	s_waitcnt vmcnt(0)
	v_fmac_f32_e32 v3, v5, v5
	v_mul_f32_e32 v1, 0x4f800000, v3
	v_cmp_gt_f32_e32 vcc, s14, v3
	v_cndmask_b32_e32 v1, v3, v1, vcc
	v_sqrt_f32_e32 v3, v1
	s_mov_b64 s[14:15], s[2:3]
	v_add_u32_e32 v7, -1, v3
	v_add_u32_e32 v8, 1, v3
	v_fma_f32 v9, -v7, v3, v1
	v_fma_f32 v10, -v8, v3, v1
	v_cmp_ge_f32_e64 s[2:3], 0, v9
	v_cndmask_b32_e64 v3, v3, v7, s[2:3]
	v_cmp_lt_f32_e64 s[2:3], 0, v10
	v_cndmask_b32_e64 v3, v3, v8, s[2:3]
	v_mul_f32_e32 v7, 0x37800000, v3
	v_cndmask_b32_e32 v3, v3, v7, vcc
	v_cmp_class_f32_e32 vcc, v1, v6
	v_cndmask_b32_e32 v1, v3, v1, vcc
	v_cmp_le_f32_e32 vcc, 0, v5
	v_cndmask_b32_e64 v1, v1, -v1, vcc
	v_sub_f32_e32 v3, v5, v1
	v_sub_f32_e32 v5, v1, v5
	v_div_scale_f32 v6, s[2:3], v3, v3, 1.0
	v_div_scale_f32 v8, s[2:3], v1, v1, v5
	v_rcp_f32_e32 v9, v6
	v_rcp_f32_e32 v10, v8
	v_div_scale_f32 v7, vcc, 1.0, v3, 1.0
	v_fma_f32 v12, -v6, v9, 1.0
	v_fma_f32 v13, -v8, v10, 1.0
	v_fmac_f32_e32 v9, v12, v9
	v_div_scale_f32 v11, s[2:3], v5, v1, v5
	v_fmac_f32_e32 v10, v13, v10
	v_mul_f32_e32 v12, v7, v9
	v_mul_f32_e32 v13, v11, v10
	v_fma_f32 v14, -v6, v12, v7
	v_fma_f32 v15, -v8, v13, v11
	v_fmac_f32_e32 v12, v14, v9
	v_fmac_f32_e32 v13, v15, v10
	v_fma_f32 v6, -v6, v12, v7
	v_fma_f32 v7, -v8, v13, v11
	v_div_fmas_f32 v6, v6, v9, v12
	s_mov_b64 vcc, s[2:3]
	v_div_fixup_f32 v3, v6, v3, 1.0
	v_div_fmas_f32 v6, v7, v10, v13
	ds_write_b32 v4, v3
	v_div_fixup_f32 v3, v6, v1, v5
	global_store_dword v4, v3, s[10:11]
.LBB8_17:
	s_andn2_b64 vcc, exec, s[16:17]
	s_cbranch_vccz .LBB8_24
; %bb.18:
	s_andn2_b64 vcc, exec, s[14:15]
	s_cbranch_vccnz .LBB8_20
.LBB8_19:
	v_mov_b32_e32 v3, 0
	s_waitcnt vmcnt(0)
	global_store_dword v3, v1, s[4:5]
.LBB8_20:
	s_or_b64 exec, exec, s[8:9]
	s_waitcnt lgkmcnt(0)
	s_barrier
	s_and_saveexec_b64 s[2:3], s[0:1]
	s_cbranch_execz .LBB8_23
; %bb.21:
	s_waitcnt vmcnt(0)
	v_mov_b32_e32 v1, 0
	ds_read_b32 v1, v1
	s_lshl_b32 s2, s22, 9
	s_mov_b64 s[0:1], 0
	v_mov_b32_e32 v4, s23
.LBB8_22:                               ; =>This Inner Loop Header: Depth=1
	v_ashrrev_i32_e32 v3, 31, v2
	v_lshlrev_b64 v[6:7], 2, v[2:3]
	v_add_co_u32_e32 v6, vcc, s20, v6
	v_addc_co_u32_e32 v7, vcc, v4, v7, vcc
	global_load_dword v3, v[6:7], off
	v_add_u32_e32 v0, 0x200, v0
	v_cmp_le_i32_e32 vcc, s21, v0
	s_or_b64 s[0:1], vcc, s[0:1]
	v_add_u32_e32 v2, s2, v2
	s_waitcnt vmcnt(0) lgkmcnt(0)
	v_mul_f32_e32 v3, v1, v3
	global_store_dword v[6:7], v3, off
	s_andn2_b64 exec, exec, s[0:1]
	s_cbranch_execnz .LBB8_22
.LBB8_23:
	s_endpgm
.LBB8_24:
	v_pk_mov_b32 v[4:5], s[6:7], s[6:7] op_sel:[0,1]
	s_waitcnt vmcnt(0)
	flat_store_dword v[4:5], v1
	v_mov_b32_e32 v1, 1.0
	s_branch .LBB8_19
	.section	.rodata,"a",@progbits
	.p2align	6, 0x0
	.amdhsa_kernel _ZN9rocsolver6v33100L18larfg_kernel_smallILi512EfifPKPfEEvT1_T3_llPT2_llS6_lS5_lPT0_l
		.amdhsa_group_segment_fixed_size 32
		.amdhsa_private_segment_fixed_size 0
		.amdhsa_kernarg_size 104
		.amdhsa_user_sgpr_count 6
		.amdhsa_user_sgpr_private_segment_buffer 1
		.amdhsa_user_sgpr_dispatch_ptr 0
		.amdhsa_user_sgpr_queue_ptr 0
		.amdhsa_user_sgpr_kernarg_segment_ptr 1
		.amdhsa_user_sgpr_dispatch_id 0
		.amdhsa_user_sgpr_flat_scratch_init 0
		.amdhsa_user_sgpr_kernarg_preload_length 0
		.amdhsa_user_sgpr_kernarg_preload_offset 0
		.amdhsa_user_sgpr_private_segment_size 0
		.amdhsa_uses_dynamic_stack 0
		.amdhsa_system_sgpr_private_segment_wavefront_offset 0
		.amdhsa_system_sgpr_workgroup_id_x 1
		.amdhsa_system_sgpr_workgroup_id_y 0
		.amdhsa_system_sgpr_workgroup_id_z 1
		.amdhsa_system_sgpr_workgroup_info 0
		.amdhsa_system_vgpr_workitem_id 0
		.amdhsa_next_free_vgpr 16
		.amdhsa_next_free_sgpr 24
		.amdhsa_accum_offset 16
		.amdhsa_reserve_vcc 1
		.amdhsa_reserve_flat_scratch 0
		.amdhsa_float_round_mode_32 0
		.amdhsa_float_round_mode_16_64 0
		.amdhsa_float_denorm_mode_32 3
		.amdhsa_float_denorm_mode_16_64 3
		.amdhsa_dx10_clamp 1
		.amdhsa_ieee_mode 1
		.amdhsa_fp16_overflow 0
		.amdhsa_tg_split 0
		.amdhsa_exception_fp_ieee_invalid_op 0
		.amdhsa_exception_fp_denorm_src 0
		.amdhsa_exception_fp_ieee_div_zero 0
		.amdhsa_exception_fp_ieee_overflow 0
		.amdhsa_exception_fp_ieee_underflow 0
		.amdhsa_exception_fp_ieee_inexact 0
		.amdhsa_exception_int_div_zero 0
	.end_amdhsa_kernel
	.section	.text._ZN9rocsolver6v33100L18larfg_kernel_smallILi512EfifPKPfEEvT1_T3_llPT2_llS6_lS5_lPT0_l,"axG",@progbits,_ZN9rocsolver6v33100L18larfg_kernel_smallILi512EfifPKPfEEvT1_T3_llPT2_llS6_lS5_lPT0_l,comdat
.Lfunc_end8:
	.size	_ZN9rocsolver6v33100L18larfg_kernel_smallILi512EfifPKPfEEvT1_T3_llPT2_llS6_lS5_lPT0_l, .Lfunc_end8-_ZN9rocsolver6v33100L18larfg_kernel_smallILi512EfifPKPfEEvT1_T3_llPT2_llS6_lS5_lPT0_l
                                        ; -- End function
	.section	.AMDGPU.csdata,"",@progbits
; Kernel info:
; codeLenInByte = 1396
; NumSgprs: 28
; NumVgprs: 16
; NumAgprs: 0
; TotalNumVgprs: 16
; ScratchSize: 0
; MemoryBound: 0
; FloatMode: 240
; IeeeMode: 1
; LDSByteSize: 32 bytes/workgroup (compile time only)
; SGPRBlocks: 3
; VGPRBlocks: 1
; NumSGPRsForWavesPerEU: 28
; NumVGPRsForWavesPerEU: 16
; AccumOffset: 16
; Occupancy: 8
; WaveLimiterHint : 1
; COMPUTE_PGM_RSRC2:SCRATCH_EN: 0
; COMPUTE_PGM_RSRC2:USER_SGPR: 6
; COMPUTE_PGM_RSRC2:TRAP_HANDLER: 0
; COMPUTE_PGM_RSRC2:TGID_X_EN: 1
; COMPUTE_PGM_RSRC2:TGID_Y_EN: 0
; COMPUTE_PGM_RSRC2:TGID_Z_EN: 1
; COMPUTE_PGM_RSRC2:TIDIG_COMP_CNT: 0
; COMPUTE_PGM_RSRC3_GFX90A:ACCUM_OFFSET: 3
; COMPUTE_PGM_RSRC3_GFX90A:TG_SPLIT: 0
	.section	.text._ZN9rocsolver6v33100L18larfg_kernel_smallILi1024EfifPKPfEEvT1_T3_llPT2_llS6_lS5_lPT0_l,"axG",@progbits,_ZN9rocsolver6v33100L18larfg_kernel_smallILi1024EfifPKPfEEvT1_T3_llPT2_llS6_lS5_lPT0_l,comdat
	.globl	_ZN9rocsolver6v33100L18larfg_kernel_smallILi1024EfifPKPfEEvT1_T3_llPT2_llS6_lS5_lPT0_l ; -- Begin function _ZN9rocsolver6v33100L18larfg_kernel_smallILi1024EfifPKPfEEvT1_T3_llPT2_llS6_lS5_lPT0_l
	.p2align	8
	.type	_ZN9rocsolver6v33100L18larfg_kernel_smallILi1024EfifPKPfEEvT1_T3_llPT2_llS6_lS5_lPT0_l,@function
_ZN9rocsolver6v33100L18larfg_kernel_smallILi1024EfifPKPfEEvT1_T3_llPT2_llS6_lS5_lPT0_l: ; @_ZN9rocsolver6v33100L18larfg_kernel_smallILi1024EfifPKPfEEvT1_T3_llPT2_llS6_lS5_lPT0_l
; %bb.0:
	s_load_dwordx4 s[0:3], s[4:5], 0x8
	s_load_dwordx8 s[8:15], s[4:5], 0x20
	s_load_dwordx2 s[18:19], s[4:5], 0x40
	s_mov_b32 s16, s7
	s_ashr_i32 s17, s7, 31
	s_lshl_b64 s[6:7], s[16:17], 3
	s_waitcnt lgkmcnt(0)
	s_add_u32 s0, s0, s6
	s_addc_u32 s1, s1, s7
	s_add_u32 s6, s14, s6
	s_addc_u32 s7, s15, s7
	s_load_dwordx2 s[14:15], s[6:7], 0x0
	s_cmp_eq_u64 s[8:9], 0
	s_mov_b64 s[6:7], 0
	s_cbranch_scc1 .LBB9_2
; %bb.1:
	s_mul_i32 s6, s16, s13
	s_mul_hi_u32 s7, s16, s12
	s_add_i32 s6, s7, s6
	s_mul_i32 s7, s17, s12
	s_add_i32 s7, s6, s7
	s_mul_i32 s6, s16, s12
	s_lshl_b64 s[6:7], s[6:7], 2
	s_add_u32 s8, s8, s6
	s_addc_u32 s9, s9, s7
	s_lshl_b64 s[6:7], s[10:11], 2
	s_add_u32 s6, s8, s6
	s_addc_u32 s7, s9, s7
.LBB9_2:
	s_load_dwordx2 s[10:11], s[0:1], 0x0
	s_load_dword s21, s[4:5], 0x0
	s_load_dword s22, s[4:5], 0x48
	s_lshl_b64 s[0:1], s[18:19], 2
	s_waitcnt lgkmcnt(0)
	s_add_u32 s20, s14, s0
	s_addc_u32 s23, s15, s1
	s_add_i32 s21, s21, -1
	v_cmp_gt_i32_e64 s[0:1], s21, v0
	v_mov_b32_e32 v1, 0
	v_mul_lo_u32 v2, v0, s22
	s_and_saveexec_b64 s[8:9], s[0:1]
	s_cbranch_execz .LBB9_6
; %bb.3:
	v_mul_lo_u32 v4, v0, s22
	s_lshl_b32 s14, s22, 10
	s_mov_b64 s[12:13], 0
	v_mov_b32_e32 v1, 0
	v_mov_b32_e32 v3, s23
	;; [unrolled: 1-line block ×3, first 2 shown]
.LBB9_4:                                ; =>This Inner Loop Header: Depth=1
	v_ashrrev_i32_e32 v5, 31, v4
	v_lshlrev_b64 v[8:9], 2, v[4:5]
	v_add_co_u32_e32 v8, vcc, s20, v8
	v_addc_co_u32_e32 v9, vcc, v3, v9, vcc
	global_load_dword v5, v[8:9], off
	v_add_u32_e32 v6, 0x400, v6
	v_cmp_le_i32_e32 vcc, s21, v6
	s_or_b64 s[12:13], vcc, s[12:13]
	v_add_u32_e32 v4, s14, v4
	s_waitcnt vmcnt(0)
	v_mul_f32_e32 v5, v5, v5
	v_add_f32_e32 v1, v1, v5
	s_andn2_b64 exec, exec, s[12:13]
	s_cbranch_execnz .LBB9_4
; %bb.5:
	s_or_b64 exec, exec, s[12:13]
.LBB9_6:
	s_or_b64 exec, exec, s[8:9]
	v_mbcnt_lo_u32_b32 v3, -1, 0
	v_mbcnt_hi_u32_b32 v3, -1, v3
	v_and_b32_e32 v4, 63, v3
	v_cmp_ne_u32_e32 vcc, 63, v4
	v_addc_co_u32_e32 v5, vcc, 0, v3, vcc
	v_lshlrev_b32_e32 v5, 2, v5
	ds_bpermute_b32 v5, v5, v1
	v_cmp_gt_u32_e32 vcc, 62, v4
	v_cndmask_b32_e64 v6, 0, 1, vcc
	v_cmp_gt_u32_e32 vcc, 60, v4
	s_waitcnt lgkmcnt(0)
	v_add_f32_e32 v1, v1, v5
	v_lshlrev_b32_e32 v5, 1, v6
	v_add_lshl_u32 v5, v5, v3, 2
	ds_bpermute_b32 v5, v5, v1
	v_cndmask_b32_e64 v6, 0, 1, vcc
	v_cmp_gt_u32_e32 vcc, 56, v4
	s_waitcnt lgkmcnt(0)
	v_add_f32_e32 v1, v1, v5
	v_lshlrev_b32_e32 v5, 2, v6
	v_add_lshl_u32 v5, v5, v3, 2
	ds_bpermute_b32 v5, v5, v1
	;; [unrolled: 7-line block ×3, first 2 shown]
	v_cndmask_b32_e64 v6, 0, 1, vcc
	v_cmp_gt_u32_e32 vcc, 32, v4
	v_cndmask_b32_e64 v4, 0, 1, vcc
	v_lshlrev_b32_e32 v4, 5, v4
	s_waitcnt lgkmcnt(0)
	v_add_f32_e32 v1, v1, v5
	v_lshlrev_b32_e32 v5, 4, v6
	v_add_lshl_u32 v5, v5, v3, 2
	ds_bpermute_b32 v5, v5, v1
	v_add_lshl_u32 v3, v4, v3, 2
	v_and_b32_e32 v4, 63, v0
	v_cmp_eq_u32_e32 vcc, 0, v4
	s_waitcnt lgkmcnt(0)
	v_add_f32_e32 v1, v1, v5
	ds_bpermute_b32 v3, v3, v1
	s_waitcnt lgkmcnt(0)
	v_add_f32_e32 v1, v1, v3
	s_and_saveexec_b64 s[8:9], vcc
	s_cbranch_execz .LBB9_8
; %bb.7:
	v_lshrrev_b32_e32 v3, 4, v0
	ds_write_b32 v3, v1
.LBB9_8:
	s_or_b64 exec, exec, s[8:9]
	v_cmp_eq_u32_e32 vcc, 0, v0
	s_waitcnt lgkmcnt(0)
	s_barrier
	s_and_saveexec_b64 s[8:9], vcc
	s_cbranch_execz .LBB9_10
; %bb.9:
	v_mov_b32_e32 v3, 0
	ds_read2_b32 v[4:5], v3 offset0:1 offset1:2
	ds_read2_b32 v[6:7], v3 offset0:3 offset1:4
	;; [unrolled: 1-line block ×4, first 2 shown]
	s_waitcnt lgkmcnt(3)
	v_add_f32_e32 v1, v1, v4
	v_add_f32_e32 v1, v1, v5
	s_waitcnt lgkmcnt(2)
	v_add_f32_e32 v1, v1, v6
	v_add_f32_e32 v1, v1, v7
	ds_read2_b32 v[4:5], v3 offset0:9 offset1:10
	s_waitcnt lgkmcnt(2)
	v_add_f32_e32 v1, v1, v8
	v_add_f32_e32 v1, v1, v9
	s_waitcnt lgkmcnt(1)
	v_add_f32_e32 v1, v1, v10
	v_add_f32_e32 v1, v1, v11
	ds_read2_b32 v[6:7], v3 offset0:11 offset1:12
	ds_read2_b32 v[8:9], v3 offset0:13 offset1:14
	ds_read_b32 v10, v3 offset:60
	s_waitcnt lgkmcnt(3)
	v_add_f32_e32 v1, v1, v4
	v_add_f32_e32 v1, v1, v5
	s_waitcnt lgkmcnt(2)
	v_add_f32_e32 v1, v1, v6
	v_add_f32_e32 v1, v1, v7
	;; [unrolled: 3-line block ×3, first 2 shown]
	s_waitcnt lgkmcnt(0)
	v_add_f32_e32 v1, v1, v10
	ds_write_b32 v3, v1
.LBB9_10:
	s_or_b64 exec, exec, s[8:9]
	s_waitcnt lgkmcnt(0)
	s_barrier
	s_and_saveexec_b64 s[8:9], vcc
	s_cbranch_execz .LBB9_20
; %bb.11:
	s_load_dwordx4 s[12:15], s[4:5], 0x58
	s_lshl_b64 s[2:3], s[2:3], 2
	s_add_u32 s4, s10, s2
	s_addc_u32 s5, s11, s3
	v_mov_b32_e32 v1, 0
	s_waitcnt lgkmcnt(0)
	s_mul_i32 s2, s16, s15
	s_mul_hi_u32 s3, s16, s14
	s_add_i32 s2, s3, s2
	s_mul_i32 s3, s17, s14
	s_add_i32 s3, s2, s3
	s_mul_i32 s2, s16, s14
	ds_read_b32 v3, v1
	s_lshl_b64 s[2:3], s[2:3], 2
	s_add_u32 s10, s12, s2
	s_addc_u32 s11, s13, s3
	s_cmp_eq_u64 s[6:7], 0
	s_cselect_b64 s[2:3], -1, 0
	s_cmp_lg_u64 s[6:7], 0
	s_waitcnt lgkmcnt(0)
	v_cmp_nlt_f32_e32 vcc, 0, v3
	s_mov_b64 s[14:15], 0
	s_cselect_b64 s[12:13], -1, 0
	s_cbranch_vccz .LBB9_14
; %bb.12:
	v_mov_b32_e32 v4, 1.0
	s_mov_b64 s[18:19], 0
	s_and_b64 vcc, exec, s[12:13]
	ds_write_b32 v1, v4
	global_store_dword v1, v1, s[10:11]
	s_cbranch_vccz .LBB9_15
; %bb.13:
	v_mov_b32_e32 v1, 0
	global_load_dword v1, v1, s[4:5]
	s_mov_b64 s[16:17], -1
	s_and_b64 vcc, exec, s[18:19]
	s_cbranch_vccnz .LBB9_16
	s_branch .LBB9_17
.LBB9_14:
	s_mov_b64 s[18:19], -1
.LBB9_15:
	s_mov_b64 s[16:17], 0
                                        ; implicit-def: $vgpr1
	s_and_b64 vcc, exec, s[18:19]
	s_cbranch_vccz .LBB9_17
.LBB9_16:
	v_mov_b32_e32 v4, 0
	global_load_dword v5, v4, s[4:5]
	s_mov_b32 s14, 0xf800000
	v_mov_b32_e32 v6, 0x260
	s_mov_b64 s[16:17], s[12:13]
	s_waitcnt vmcnt(0)
	v_fmac_f32_e32 v3, v5, v5
	v_mul_f32_e32 v1, 0x4f800000, v3
	v_cmp_gt_f32_e32 vcc, s14, v3
	v_cndmask_b32_e32 v1, v3, v1, vcc
	v_sqrt_f32_e32 v3, v1
	s_mov_b64 s[14:15], s[2:3]
	v_add_u32_e32 v7, -1, v3
	v_add_u32_e32 v8, 1, v3
	v_fma_f32 v9, -v7, v3, v1
	v_fma_f32 v10, -v8, v3, v1
	v_cmp_ge_f32_e64 s[2:3], 0, v9
	v_cndmask_b32_e64 v3, v3, v7, s[2:3]
	v_cmp_lt_f32_e64 s[2:3], 0, v10
	v_cndmask_b32_e64 v3, v3, v8, s[2:3]
	v_mul_f32_e32 v7, 0x37800000, v3
	v_cndmask_b32_e32 v3, v3, v7, vcc
	v_cmp_class_f32_e32 vcc, v1, v6
	v_cndmask_b32_e32 v1, v3, v1, vcc
	v_cmp_le_f32_e32 vcc, 0, v5
	v_cndmask_b32_e64 v1, v1, -v1, vcc
	v_sub_f32_e32 v3, v5, v1
	v_sub_f32_e32 v5, v1, v5
	v_div_scale_f32 v6, s[2:3], v3, v3, 1.0
	v_div_scale_f32 v8, s[2:3], v1, v1, v5
	v_rcp_f32_e32 v9, v6
	v_rcp_f32_e32 v10, v8
	v_div_scale_f32 v7, vcc, 1.0, v3, 1.0
	v_fma_f32 v12, -v6, v9, 1.0
	v_fma_f32 v13, -v8, v10, 1.0
	v_fmac_f32_e32 v9, v12, v9
	v_div_scale_f32 v11, s[2:3], v5, v1, v5
	v_fmac_f32_e32 v10, v13, v10
	v_mul_f32_e32 v12, v7, v9
	v_mul_f32_e32 v13, v11, v10
	v_fma_f32 v14, -v6, v12, v7
	v_fma_f32 v15, -v8, v13, v11
	v_fmac_f32_e32 v12, v14, v9
	v_fmac_f32_e32 v13, v15, v10
	v_fma_f32 v6, -v6, v12, v7
	v_fma_f32 v7, -v8, v13, v11
	v_div_fmas_f32 v6, v6, v9, v12
	s_mov_b64 vcc, s[2:3]
	v_div_fixup_f32 v3, v6, v3, 1.0
	v_div_fmas_f32 v6, v7, v10, v13
	ds_write_b32 v4, v3
	v_div_fixup_f32 v3, v6, v1, v5
	global_store_dword v4, v3, s[10:11]
.LBB9_17:
	s_andn2_b64 vcc, exec, s[16:17]
	s_cbranch_vccz .LBB9_24
; %bb.18:
	s_andn2_b64 vcc, exec, s[14:15]
	s_cbranch_vccnz .LBB9_20
.LBB9_19:
	v_mov_b32_e32 v3, 0
	s_waitcnt vmcnt(0)
	global_store_dword v3, v1, s[4:5]
.LBB9_20:
	s_or_b64 exec, exec, s[8:9]
	s_waitcnt lgkmcnt(0)
	s_barrier
	s_and_saveexec_b64 s[2:3], s[0:1]
	s_cbranch_execz .LBB9_23
; %bb.21:
	s_waitcnt vmcnt(0)
	v_mov_b32_e32 v1, 0
	ds_read_b32 v1, v1
	s_lshl_b32 s2, s22, 10
	s_mov_b64 s[0:1], 0
	v_mov_b32_e32 v4, s23
.LBB9_22:                               ; =>This Inner Loop Header: Depth=1
	v_ashrrev_i32_e32 v3, 31, v2
	v_lshlrev_b64 v[6:7], 2, v[2:3]
	v_add_co_u32_e32 v6, vcc, s20, v6
	v_addc_co_u32_e32 v7, vcc, v4, v7, vcc
	global_load_dword v3, v[6:7], off
	v_add_u32_e32 v0, 0x400, v0
	v_cmp_le_i32_e32 vcc, s21, v0
	s_or_b64 s[0:1], vcc, s[0:1]
	v_add_u32_e32 v2, s2, v2
	s_waitcnt vmcnt(0) lgkmcnt(0)
	v_mul_f32_e32 v3, v1, v3
	global_store_dword v[6:7], v3, off
	s_andn2_b64 exec, exec, s[0:1]
	s_cbranch_execnz .LBB9_22
.LBB9_23:
	s_endpgm
.LBB9_24:
	v_pk_mov_b32 v[4:5], s[6:7], s[6:7] op_sel:[0,1]
	s_waitcnt vmcnt(0)
	flat_store_dword v[4:5], v1
	v_mov_b32_e32 v1, 1.0
	s_branch .LBB9_19
	.section	.rodata,"a",@progbits
	.p2align	6, 0x0
	.amdhsa_kernel _ZN9rocsolver6v33100L18larfg_kernel_smallILi1024EfifPKPfEEvT1_T3_llPT2_llS6_lS5_lPT0_l
		.amdhsa_group_segment_fixed_size 64
		.amdhsa_private_segment_fixed_size 0
		.amdhsa_kernarg_size 104
		.amdhsa_user_sgpr_count 6
		.amdhsa_user_sgpr_private_segment_buffer 1
		.amdhsa_user_sgpr_dispatch_ptr 0
		.amdhsa_user_sgpr_queue_ptr 0
		.amdhsa_user_sgpr_kernarg_segment_ptr 1
		.amdhsa_user_sgpr_dispatch_id 0
		.amdhsa_user_sgpr_flat_scratch_init 0
		.amdhsa_user_sgpr_kernarg_preload_length 0
		.amdhsa_user_sgpr_kernarg_preload_offset 0
		.amdhsa_user_sgpr_private_segment_size 0
		.amdhsa_uses_dynamic_stack 0
		.amdhsa_system_sgpr_private_segment_wavefront_offset 0
		.amdhsa_system_sgpr_workgroup_id_x 1
		.amdhsa_system_sgpr_workgroup_id_y 0
		.amdhsa_system_sgpr_workgroup_id_z 1
		.amdhsa_system_sgpr_workgroup_info 0
		.amdhsa_system_vgpr_workitem_id 0
		.amdhsa_next_free_vgpr 16
		.amdhsa_next_free_sgpr 24
		.amdhsa_accum_offset 16
		.amdhsa_reserve_vcc 1
		.amdhsa_reserve_flat_scratch 0
		.amdhsa_float_round_mode_32 0
		.amdhsa_float_round_mode_16_64 0
		.amdhsa_float_denorm_mode_32 3
		.amdhsa_float_denorm_mode_16_64 3
		.amdhsa_dx10_clamp 1
		.amdhsa_ieee_mode 1
		.amdhsa_fp16_overflow 0
		.amdhsa_tg_split 0
		.amdhsa_exception_fp_ieee_invalid_op 0
		.amdhsa_exception_fp_denorm_src 0
		.amdhsa_exception_fp_ieee_div_zero 0
		.amdhsa_exception_fp_ieee_overflow 0
		.amdhsa_exception_fp_ieee_underflow 0
		.amdhsa_exception_fp_ieee_inexact 0
		.amdhsa_exception_int_div_zero 0
	.end_amdhsa_kernel
	.section	.text._ZN9rocsolver6v33100L18larfg_kernel_smallILi1024EfifPKPfEEvT1_T3_llPT2_llS6_lS5_lPT0_l,"axG",@progbits,_ZN9rocsolver6v33100L18larfg_kernel_smallILi1024EfifPKPfEEvT1_T3_llPT2_llS6_lS5_lPT0_l,comdat
.Lfunc_end9:
	.size	_ZN9rocsolver6v33100L18larfg_kernel_smallILi1024EfifPKPfEEvT1_T3_llPT2_llS6_lS5_lPT0_l, .Lfunc_end9-_ZN9rocsolver6v33100L18larfg_kernel_smallILi1024EfifPKPfEEvT1_T3_llPT2_llS6_lS5_lPT0_l
                                        ; -- End function
	.section	.AMDGPU.csdata,"",@progbits
; Kernel info:
; codeLenInByte = 1476
; NumSgprs: 28
; NumVgprs: 16
; NumAgprs: 0
; TotalNumVgprs: 16
; ScratchSize: 0
; MemoryBound: 0
; FloatMode: 240
; IeeeMode: 1
; LDSByteSize: 64 bytes/workgroup (compile time only)
; SGPRBlocks: 3
; VGPRBlocks: 1
; NumSGPRsForWavesPerEU: 28
; NumVGPRsForWavesPerEU: 16
; AccumOffset: 16
; Occupancy: 8
; WaveLimiterHint : 1
; COMPUTE_PGM_RSRC2:SCRATCH_EN: 0
; COMPUTE_PGM_RSRC2:USER_SGPR: 6
; COMPUTE_PGM_RSRC2:TRAP_HANDLER: 0
; COMPUTE_PGM_RSRC2:TGID_X_EN: 1
; COMPUTE_PGM_RSRC2:TGID_Y_EN: 0
; COMPUTE_PGM_RSRC2:TGID_Z_EN: 1
; COMPUTE_PGM_RSRC2:TIDIG_COMP_CNT: 0
; COMPUTE_PGM_RSRC3_GFX90A:ACCUM_OFFSET: 3
; COMPUTE_PGM_RSRC3_GFX90A:TG_SPLIT: 0
	.section	.text._ZN9rocsolver6v33100L18larfg_kernel_smallILi64EflfPfEEvT1_T3_llPT2_llS4_lS3_lPT0_l,"axG",@progbits,_ZN9rocsolver6v33100L18larfg_kernel_smallILi64EflfPfEEvT1_T3_llPT2_llS4_lS3_lPT0_l,comdat
	.globl	_ZN9rocsolver6v33100L18larfg_kernel_smallILi64EflfPfEEvT1_T3_llPT2_llS4_lS3_lPT0_l ; -- Begin function _ZN9rocsolver6v33100L18larfg_kernel_smallILi64EflfPfEEvT1_T3_llPT2_llS4_lS3_lPT0_l
	.p2align	8
	.type	_ZN9rocsolver6v33100L18larfg_kernel_smallILi64EflfPfEEvT1_T3_llPT2_llS4_lS3_lPT0_l,@function
_ZN9rocsolver6v33100L18larfg_kernel_smallILi64EflfPfEEvT1_T3_llPT2_llS4_lS3_lPT0_l: ; @_ZN9rocsolver6v33100L18larfg_kernel_smallILi64EflfPfEEvT1_T3_llPT2_llS4_lS3_lPT0_l
; %bb.0:
	s_load_dwordx16 s[8:23], s[4:5], 0x0
	s_mov_b64 s[34:35], 0
	s_waitcnt lgkmcnt(0)
	s_cmp_eq_u64 s[16:17], 0
	s_cbranch_scc1 .LBB10_2
; %bb.1:
	s_mul_i32 s0, s7, s21
	s_mul_hi_u32 s1, s7, s20
	s_add_i32 s1, s1, s0
	s_mul_i32 s0, s7, s20
	s_lshl_b64 s[0:1], s[0:1], 2
	s_add_u32 s2, s16, s0
	s_addc_u32 s3, s17, s1
	s_lshl_b64 s[0:1], s[18:19], 2
	s_add_u32 s34, s2, s0
	s_addc_u32 s35, s3, s1
.LBB10_2:
	s_load_dwordx8 s[24:31], s[4:5], 0x40
	s_load_dwordx2 s[2:3], s[4:5], 0x60
	s_add_u32 s4, s8, -1
	v_mov_b32_e32 v1, 0
	s_addc_u32 s5, s9, -1
	v_cmp_gt_i64_e64 s[0:1], s[4:5], v[0:1]
	s_waitcnt lgkmcnt(0)
	s_mul_i32 s29, s29, s7
	s_mul_hi_u32 s33, s28, s7
	s_mul_i32 s8, s28, s7
	v_mov_b32_e32 v6, v1
	s_and_saveexec_b64 s[16:17], s[0:1]
	s_cbranch_execz .LBB10_6
; %bb.3:
	v_mad_u64_u32 v[2:3], s[20:21], s26, v0, 0
	v_mov_b32_e32 v4, v3
	s_add_i32 s9, s33, s29
	v_mad_u64_u32 v[4:5], s[20:21], s27, v0, v[4:5]
	s_lshl_b64 s[18:19], s[8:9], 2
	s_lshl_b64 s[20:21], s[24:25], 2
	s_add_u32 s6, s22, s20
	s_addc_u32 s9, s23, s21
	v_mov_b32_e32 v3, v4
	s_add_u32 s6, s6, s18
	v_lshlrev_b64 v[2:3], 2, v[2:3]
	s_addc_u32 s9, s9, s19
	v_mov_b32_e32 v4, s9
	v_add_co_u32_e32 v2, vcc, s6, v2
	s_lshl_b64 s[20:21], s[26:27], 8
	v_addc_co_u32_e32 v3, vcc, v4, v3, vcc
	s_mov_b64 s[18:19], 0
	v_mov_b32_e32 v6, 0
	v_mov_b32_e32 v7, s21
	v_pk_mov_b32 v[4:5], v[0:1], v[0:1] op_sel:[0,1]
.LBB10_4:                               ; =>This Inner Loop Header: Depth=1
	global_load_dword v8, v[2:3], off
	v_add_co_u32_e32 v4, vcc, 64, v4
	v_addc_co_u32_e32 v5, vcc, 0, v5, vcc
	v_add_co_u32_e32 v2, vcc, s20, v2
	v_addc_co_u32_e32 v3, vcc, v3, v7, vcc
	v_cmp_le_i64_e32 vcc, s[4:5], v[4:5]
	s_or_b64 s[18:19], vcc, s[18:19]
	s_waitcnt vmcnt(0)
	v_mul_f32_e32 v8, v8, v8
	v_add_f32_e32 v6, v6, v8
	s_andn2_b64 exec, exec, s[18:19]
	s_cbranch_execnz .LBB10_4
; %bb.5:
	s_or_b64 exec, exec, s[18:19]
.LBB10_6:
	s_or_b64 exec, exec, s[16:17]
	v_mbcnt_lo_u32_b32 v2, -1, 0
	v_mbcnt_hi_u32_b32 v2, -1, v2
	v_and_b32_e32 v3, 63, v2
	v_cmp_ne_u32_e32 vcc, 63, v3
	v_addc_co_u32_e32 v4, vcc, 0, v2, vcc
	v_lshlrev_b32_e32 v4, 2, v4
	ds_bpermute_b32 v4, v4, v6
	v_cmp_gt_u32_e32 vcc, 62, v3
	v_cndmask_b32_e64 v5, 0, 1, vcc
	v_lshlrev_b32_e32 v5, 1, v5
	v_add_lshl_u32 v5, v5, v2, 2
	s_waitcnt lgkmcnt(0)
	v_add_f32_e32 v4, v6, v4
	ds_bpermute_b32 v5, v5, v4
	v_cmp_gt_u32_e32 vcc, 60, v3
	v_cndmask_b32_e64 v6, 0, 1, vcc
	v_cmp_gt_u32_e32 vcc, 56, v3
	s_waitcnt lgkmcnt(0)
	v_add_f32_e32 v4, v4, v5
	v_lshlrev_b32_e32 v5, 2, v6
	v_add_lshl_u32 v5, v5, v2, 2
	ds_bpermute_b32 v5, v5, v4
	v_cndmask_b32_e64 v6, 0, 1, vcc
	v_cmp_gt_u32_e32 vcc, 48, v3
	s_waitcnt lgkmcnt(0)
	v_add_f32_e32 v4, v4, v5
	v_lshlrev_b32_e32 v5, 3, v6
	v_add_lshl_u32 v5, v5, v2, 2
	ds_bpermute_b32 v5, v5, v4
	v_cndmask_b32_e64 v6, 0, 1, vcc
	v_cmp_gt_u32_e32 vcc, 32, v3
	v_cndmask_b32_e64 v3, 0, 1, vcc
	v_lshlrev_b32_e32 v3, 5, v3
	s_waitcnt lgkmcnt(0)
	v_add_f32_e32 v4, v4, v5
	v_lshlrev_b32_e32 v5, 4, v6
	v_add_lshl_u32 v5, v5, v2, 2
	ds_bpermute_b32 v5, v5, v4
	v_add_lshl_u32 v2, v3, v2, 2
	v_cmp_eq_u64_e32 vcc, 0, v[0:1]
	s_waitcnt lgkmcnt(0)
	v_add_f32_e32 v4, v4, v5
	ds_bpermute_b32 v2, v2, v4
	s_waitcnt lgkmcnt(0)
	v_add_f32_e32 v2, v4, v2
	s_and_saveexec_b64 s[16:17], vcc
	s_cbranch_execz .LBB10_8
; %bb.7:
	v_mov_b32_e32 v3, 0
	ds_write_b32 v3, v2
.LBB10_8:
	s_or_b64 exec, exec, s[16:17]
	v_cmp_eq_u32_e32 vcc, 0, v0
	s_waitcnt lgkmcnt(0)
	; wave barrier
	s_waitcnt lgkmcnt(0)
	s_and_saveexec_b64 s[16:17], vcc
	s_cbranch_execz .LBB10_10
; %bb.9:
	v_mov_b32_e32 v3, 0
	ds_write_b32 v3, v2
.LBB10_10:
	s_or_b64 exec, exec, s[16:17]
	s_waitcnt lgkmcnt(0)
	; wave barrier
	s_waitcnt lgkmcnt(0)
	s_and_saveexec_b64 s[16:17], vcc
	s_cbranch_execz .LBB10_20
; %bb.11:
	s_mul_i32 s6, s7, s15
	s_mul_hi_u32 s9, s7, s14
	s_add_i32 s15, s9, s6
	s_mul_i32 s14, s7, s14
	s_lshl_b64 s[14:15], s[14:15], 2
	s_add_u32 s6, s10, s14
	s_addc_u32 s9, s11, s15
	s_lshl_b64 s[10:11], s[12:13], 2
	s_add_u32 s10, s6, s10
	s_mul_i32 s3, s7, s3
	s_mul_hi_u32 s6, s7, s2
	v_mov_b32_e32 v2, 0
	s_addc_u32 s11, s9, s11
	s_add_i32 s3, s6, s3
	s_mul_i32 s2, s7, s2
	ds_read_b32 v3, v2
	s_lshl_b64 s[2:3], s[2:3], 2
	s_add_u32 s6, s30, s2
	s_addc_u32 s7, s31, s3
	s_cmp_eq_u64 s[34:35], 0
	s_cselect_b64 s[2:3], -1, 0
	s_cmp_lg_u64 s[34:35], 0
	s_waitcnt lgkmcnt(0)
	v_cmp_nlt_f32_e32 vcc, 0, v3
	s_mov_b64 s[14:15], 0
	s_cselect_b64 s[12:13], -1, 0
	s_cbranch_vccz .LBB10_14
; %bb.12:
	v_mov_b32_e32 v4, 1.0
	s_mov_b64 s[20:21], 0
	s_and_b64 vcc, exec, s[12:13]
	ds_write_b32 v2, v4
	global_store_dword v2, v2, s[6:7]
	s_cbranch_vccz .LBB10_15
; %bb.13:
	v_mov_b32_e32 v2, 0
	global_load_dword v2, v2, s[10:11]
	s_mov_b64 s[18:19], -1
	s_and_b64 vcc, exec, s[20:21]
	s_cbranch_vccnz .LBB10_16
	s_branch .LBB10_17
.LBB10_14:
	s_mov_b64 s[20:21], -1
.LBB10_15:
	s_mov_b64 s[18:19], 0
                                        ; implicit-def: $vgpr2
	s_and_b64 vcc, exec, s[20:21]
	s_cbranch_vccz .LBB10_17
.LBB10_16:
	v_mov_b32_e32 v4, 0
	global_load_dword v5, v4, s[10:11]
	s_mov_b32 s9, 0xf800000
	s_mov_b64 s[14:15], s[2:3]
	v_mov_b32_e32 v6, 0x260
	s_mov_b64 s[18:19], s[12:13]
	s_waitcnt vmcnt(0)
	v_fmac_f32_e32 v3, v5, v5
	v_mul_f32_e32 v2, 0x4f800000, v3
	v_cmp_gt_f32_e32 vcc, s9, v3
	v_cndmask_b32_e32 v2, v3, v2, vcc
	v_sqrt_f32_e32 v3, v2
	v_add_u32_e32 v7, -1, v3
	v_add_u32_e32 v8, 1, v3
	v_fma_f32 v9, -v7, v3, v2
	v_fma_f32 v10, -v8, v3, v2
	v_cmp_ge_f32_e64 s[2:3], 0, v9
	v_cndmask_b32_e64 v3, v3, v7, s[2:3]
	v_cmp_lt_f32_e64 s[2:3], 0, v10
	v_cndmask_b32_e64 v3, v3, v8, s[2:3]
	v_mul_f32_e32 v7, 0x37800000, v3
	v_cndmask_b32_e32 v3, v3, v7, vcc
	v_cmp_class_f32_e32 vcc, v2, v6
	v_cndmask_b32_e32 v2, v3, v2, vcc
	v_cmp_le_f32_e32 vcc, 0, v5
	v_cndmask_b32_e64 v2, v2, -v2, vcc
	v_sub_f32_e32 v3, v5, v2
	v_sub_f32_e32 v5, v2, v5
	v_div_scale_f32 v6, s[2:3], v3, v3, 1.0
	v_div_scale_f32 v8, s[2:3], v2, v2, v5
	v_rcp_f32_e32 v9, v6
	v_rcp_f32_e32 v10, v8
	v_div_scale_f32 v7, vcc, 1.0, v3, 1.0
	v_fma_f32 v12, -v6, v9, 1.0
	v_fma_f32 v13, -v8, v10, 1.0
	v_fmac_f32_e32 v9, v12, v9
	v_div_scale_f32 v11, s[2:3], v5, v2, v5
	v_fmac_f32_e32 v10, v13, v10
	v_mul_f32_e32 v12, v7, v9
	v_mul_f32_e32 v13, v11, v10
	v_fma_f32 v14, -v6, v12, v7
	v_fma_f32 v15, -v8, v13, v11
	v_fmac_f32_e32 v12, v14, v9
	v_fmac_f32_e32 v13, v15, v10
	v_fma_f32 v6, -v6, v12, v7
	v_fma_f32 v7, -v8, v13, v11
	v_div_fmas_f32 v6, v6, v9, v12
	s_mov_b64 vcc, s[2:3]
	v_div_fixup_f32 v3, v6, v3, 1.0
	v_div_fmas_f32 v6, v7, v10, v13
	ds_write_b32 v4, v3
	v_div_fixup_f32 v3, v6, v2, v5
	global_store_dword v4, v3, s[6:7]
.LBB10_17:
	s_andn2_b64 vcc, exec, s[18:19]
	s_cbranch_vccz .LBB10_24
; %bb.18:
	s_andn2_b64 vcc, exec, s[14:15]
	s_cbranch_vccnz .LBB10_20
.LBB10_19:
	v_mov_b32_e32 v3, 0
	s_waitcnt vmcnt(0)
	global_store_dword v3, v2, s[10:11]
.LBB10_20:
	s_or_b64 exec, exec, s[16:17]
	s_waitcnt lgkmcnt(0)
	; wave barrier
	s_waitcnt lgkmcnt(0)
	s_and_saveexec_b64 s[2:3], s[0:1]
	s_cbranch_execz .LBB10_23
; %bb.21:
	s_waitcnt vmcnt(0)
	v_mov_b32_e32 v2, 0
	ds_read_b32 v4, v2
	v_mad_u64_u32 v[2:3], s[2:3], s26, v0, 0
	v_mov_b32_e32 v6, v3
	s_add_i32 s9, s33, s29
	v_mad_u64_u32 v[6:7], s[2:3], s27, v0, v[6:7]
	s_lshl_b64 s[0:1], s[8:9], 2
	s_lshl_b64 s[2:3], s[24:25], 2
	s_add_u32 s2, s22, s2
	s_addc_u32 s3, s23, s3
	v_mov_b32_e32 v3, v6
	s_add_u32 s0, s2, s0
	v_lshlrev_b64 v[2:3], 2, v[2:3]
	s_addc_u32 s1, s3, s1
	v_mov_b32_e32 v5, s1
	v_add_co_u32_e32 v2, vcc, s0, v2
	s_lshl_b64 s[0:1], s[26:27], 8
	v_addc_co_u32_e32 v3, vcc, v5, v3, vcc
	s_mov_b64 s[2:3], 0
	v_mov_b32_e32 v5, s1
.LBB10_22:                              ; =>This Inner Loop Header: Depth=1
	global_load_dword v6, v[2:3], off
	v_add_co_u32_e32 v0, vcc, 64, v0
	v_addc_co_u32_e32 v1, vcc, 0, v1, vcc
	v_cmp_le_i64_e32 vcc, s[4:5], v[0:1]
	s_or_b64 s[2:3], vcc, s[2:3]
	s_waitcnt vmcnt(0) lgkmcnt(0)
	v_mul_f32_e32 v6, v4, v6
	global_store_dword v[2:3], v6, off
	v_add_co_u32_e32 v2, vcc, s0, v2
	v_addc_co_u32_e32 v3, vcc, v3, v5, vcc
	s_andn2_b64 exec, exec, s[2:3]
	s_cbranch_execnz .LBB10_22
.LBB10_23:
	s_endpgm
.LBB10_24:
	v_pk_mov_b32 v[4:5], s[34:35], s[34:35] op_sel:[0,1]
	s_waitcnt vmcnt(0)
	flat_store_dword v[4:5], v2
	v_mov_b32_e32 v2, 1.0
	s_branch .LBB10_19
	.section	.rodata,"a",@progbits
	.p2align	6, 0x0
	.amdhsa_kernel _ZN9rocsolver6v33100L18larfg_kernel_smallILi64EflfPfEEvT1_T3_llPT2_llS4_lS3_lPT0_l
		.amdhsa_group_segment_fixed_size 4
		.amdhsa_private_segment_fixed_size 0
		.amdhsa_kernarg_size 104
		.amdhsa_user_sgpr_count 6
		.amdhsa_user_sgpr_private_segment_buffer 1
		.amdhsa_user_sgpr_dispatch_ptr 0
		.amdhsa_user_sgpr_queue_ptr 0
		.amdhsa_user_sgpr_kernarg_segment_ptr 1
		.amdhsa_user_sgpr_dispatch_id 0
		.amdhsa_user_sgpr_flat_scratch_init 0
		.amdhsa_user_sgpr_kernarg_preload_length 0
		.amdhsa_user_sgpr_kernarg_preload_offset 0
		.amdhsa_user_sgpr_private_segment_size 0
		.amdhsa_uses_dynamic_stack 0
		.amdhsa_system_sgpr_private_segment_wavefront_offset 0
		.amdhsa_system_sgpr_workgroup_id_x 1
		.amdhsa_system_sgpr_workgroup_id_y 0
		.amdhsa_system_sgpr_workgroup_id_z 1
		.amdhsa_system_sgpr_workgroup_info 0
		.amdhsa_system_vgpr_workitem_id 0
		.amdhsa_next_free_vgpr 16
		.amdhsa_next_free_sgpr 36
		.amdhsa_accum_offset 16
		.amdhsa_reserve_vcc 1
		.amdhsa_reserve_flat_scratch 0
		.amdhsa_float_round_mode_32 0
		.amdhsa_float_round_mode_16_64 0
		.amdhsa_float_denorm_mode_32 3
		.amdhsa_float_denorm_mode_16_64 3
		.amdhsa_dx10_clamp 1
		.amdhsa_ieee_mode 1
		.amdhsa_fp16_overflow 0
		.amdhsa_tg_split 0
		.amdhsa_exception_fp_ieee_invalid_op 0
		.amdhsa_exception_fp_denorm_src 0
		.amdhsa_exception_fp_ieee_div_zero 0
		.amdhsa_exception_fp_ieee_overflow 0
		.amdhsa_exception_fp_ieee_underflow 0
		.amdhsa_exception_fp_ieee_inexact 0
		.amdhsa_exception_int_div_zero 0
	.end_amdhsa_kernel
	.section	.text._ZN9rocsolver6v33100L18larfg_kernel_smallILi64EflfPfEEvT1_T3_llPT2_llS4_lS3_lPT0_l,"axG",@progbits,_ZN9rocsolver6v33100L18larfg_kernel_smallILi64EflfPfEEvT1_T3_llPT2_llS4_lS3_lPT0_l,comdat
.Lfunc_end10:
	.size	_ZN9rocsolver6v33100L18larfg_kernel_smallILi64EflfPfEEvT1_T3_llPT2_llS4_lS3_lPT0_l, .Lfunc_end10-_ZN9rocsolver6v33100L18larfg_kernel_smallILi64EflfPfEEvT1_T3_llPT2_llS4_lS3_lPT0_l
                                        ; -- End function
	.section	.AMDGPU.csdata,"",@progbits
; Kernel info:
; codeLenInByte = 1364
; NumSgprs: 40
; NumVgprs: 16
; NumAgprs: 0
; TotalNumVgprs: 16
; ScratchSize: 0
; MemoryBound: 0
; FloatMode: 240
; IeeeMode: 1
; LDSByteSize: 4 bytes/workgroup (compile time only)
; SGPRBlocks: 4
; VGPRBlocks: 1
; NumSGPRsForWavesPerEU: 40
; NumVGPRsForWavesPerEU: 16
; AccumOffset: 16
; Occupancy: 8
; WaveLimiterHint : 0
; COMPUTE_PGM_RSRC2:SCRATCH_EN: 0
; COMPUTE_PGM_RSRC2:USER_SGPR: 6
; COMPUTE_PGM_RSRC2:TRAP_HANDLER: 0
; COMPUTE_PGM_RSRC2:TGID_X_EN: 1
; COMPUTE_PGM_RSRC2:TGID_Y_EN: 0
; COMPUTE_PGM_RSRC2:TGID_Z_EN: 1
; COMPUTE_PGM_RSRC2:TIDIG_COMP_CNT: 0
; COMPUTE_PGM_RSRC3_GFX90A:ACCUM_OFFSET: 3
; COMPUTE_PGM_RSRC3_GFX90A:TG_SPLIT: 0
	.section	.text._ZN9rocsolver6v33100L18larfg_kernel_smallILi128EflfPfEEvT1_T3_llPT2_llS4_lS3_lPT0_l,"axG",@progbits,_ZN9rocsolver6v33100L18larfg_kernel_smallILi128EflfPfEEvT1_T3_llPT2_llS4_lS3_lPT0_l,comdat
	.globl	_ZN9rocsolver6v33100L18larfg_kernel_smallILi128EflfPfEEvT1_T3_llPT2_llS4_lS3_lPT0_l ; -- Begin function _ZN9rocsolver6v33100L18larfg_kernel_smallILi128EflfPfEEvT1_T3_llPT2_llS4_lS3_lPT0_l
	.p2align	8
	.type	_ZN9rocsolver6v33100L18larfg_kernel_smallILi128EflfPfEEvT1_T3_llPT2_llS4_lS3_lPT0_l,@function
_ZN9rocsolver6v33100L18larfg_kernel_smallILi128EflfPfEEvT1_T3_llPT2_llS4_lS3_lPT0_l: ; @_ZN9rocsolver6v33100L18larfg_kernel_smallILi128EflfPfEEvT1_T3_llPT2_llS4_lS3_lPT0_l
; %bb.0:
	s_load_dwordx16 s[8:23], s[4:5], 0x0
	s_mov_b64 s[34:35], 0
	s_waitcnt lgkmcnt(0)
	s_cmp_eq_u64 s[16:17], 0
	s_cbranch_scc1 .LBB11_2
; %bb.1:
	s_mul_i32 s0, s7, s21
	s_mul_hi_u32 s1, s7, s20
	s_add_i32 s1, s1, s0
	s_mul_i32 s0, s7, s20
	s_lshl_b64 s[0:1], s[0:1], 2
	s_add_u32 s2, s16, s0
	s_addc_u32 s3, s17, s1
	s_lshl_b64 s[0:1], s[18:19], 2
	s_add_u32 s34, s2, s0
	s_addc_u32 s35, s3, s1
.LBB11_2:
	s_load_dwordx8 s[24:31], s[4:5], 0x40
	s_load_dwordx2 s[18:19], s[4:5], 0x60
	s_add_u32 s4, s8, -1
	v_mov_b32_e32 v1, 0
	s_addc_u32 s5, s9, -1
	v_cmp_gt_i64_e64 s[0:1], s[4:5], v[0:1]
	s_waitcnt lgkmcnt(0)
	s_mul_i32 s33, s29, s7
	s_mul_hi_u32 s36, s28, s7
	s_mul_i32 s8, s28, s7
	v_mov_b32_e32 v6, v1
	s_and_saveexec_b64 s[16:17], s[0:1]
	s_cbranch_execz .LBB11_6
; %bb.3:
	v_mad_u64_u32 v[2:3], s[20:21], s26, v0, 0
	v_mov_b32_e32 v4, v3
	s_add_i32 s9, s36, s33
	v_mad_u64_u32 v[4:5], s[20:21], s27, v0, v[4:5]
	s_lshl_b64 s[2:3], s[8:9], 2
	s_lshl_b64 s[20:21], s[24:25], 2
	s_add_u32 s6, s22, s20
	s_addc_u32 s9, s23, s21
	v_mov_b32_e32 v3, v4
	s_add_u32 s2, s6, s2
	v_lshlrev_b64 v[2:3], 2, v[2:3]
	s_addc_u32 s3, s9, s3
	v_mov_b32_e32 v4, s3
	v_add_co_u32_e32 v2, vcc, s2, v2
	s_lshl_b64 s[28:29], s[26:27], 9
	v_addc_co_u32_e32 v3, vcc, v4, v3, vcc
	s_mov_b64 s[20:21], 0
	v_mov_b32_e32 v6, 0
	v_mov_b32_e32 v7, s29
	v_pk_mov_b32 v[4:5], v[0:1], v[0:1] op_sel:[0,1]
.LBB11_4:                               ; =>This Inner Loop Header: Depth=1
	global_load_dword v8, v[2:3], off
	v_add_co_u32_e32 v4, vcc, 0x80, v4
	v_addc_co_u32_e32 v5, vcc, 0, v5, vcc
	v_add_co_u32_e64 v2, s[2:3], s28, v2
	v_cmp_le_i64_e32 vcc, s[4:5], v[4:5]
	v_addc_co_u32_e64 v3, s[2:3], v3, v7, s[2:3]
	s_or_b64 s[20:21], vcc, s[20:21]
	s_waitcnt vmcnt(0)
	v_mul_f32_e32 v8, v8, v8
	v_add_f32_e32 v6, v6, v8
	s_andn2_b64 exec, exec, s[20:21]
	s_cbranch_execnz .LBB11_4
; %bb.5:
	s_or_b64 exec, exec, s[20:21]
.LBB11_6:
	s_or_b64 exec, exec, s[16:17]
	v_mbcnt_lo_u32_b32 v2, -1, 0
	v_mbcnt_hi_u32_b32 v2, -1, v2
	v_and_b32_e32 v3, 63, v2
	v_cmp_ne_u32_e32 vcc, 63, v3
	v_addc_co_u32_e32 v4, vcc, 0, v2, vcc
	v_lshlrev_b32_e32 v4, 2, v4
	ds_bpermute_b32 v4, v4, v6
	v_cmp_gt_u32_e32 vcc, 62, v3
	v_cndmask_b32_e64 v5, 0, 1, vcc
	v_lshlrev_b32_e32 v5, 1, v5
	v_add_lshl_u32 v5, v5, v2, 2
	s_waitcnt lgkmcnt(0)
	v_add_f32_e32 v4, v6, v4
	ds_bpermute_b32 v5, v5, v4
	v_cmp_gt_u32_e32 vcc, 60, v3
	v_cndmask_b32_e64 v6, 0, 1, vcc
	v_cmp_gt_u32_e32 vcc, 56, v3
	s_waitcnt lgkmcnt(0)
	v_add_f32_e32 v4, v4, v5
	v_lshlrev_b32_e32 v5, 2, v6
	v_add_lshl_u32 v5, v5, v2, 2
	ds_bpermute_b32 v5, v5, v4
	v_cndmask_b32_e64 v6, 0, 1, vcc
	v_cmp_gt_u32_e32 vcc, 48, v3
	s_waitcnt lgkmcnt(0)
	v_add_f32_e32 v4, v4, v5
	v_lshlrev_b32_e32 v5, 3, v6
	v_add_lshl_u32 v5, v5, v2, 2
	ds_bpermute_b32 v5, v5, v4
	v_cndmask_b32_e64 v6, 0, 1, vcc
	v_cmp_gt_u32_e32 vcc, 32, v3
	v_cndmask_b32_e64 v3, 0, 1, vcc
	v_lshlrev_b32_e32 v3, 5, v3
	s_waitcnt lgkmcnt(0)
	v_add_f32_e32 v4, v4, v5
	v_lshlrev_b32_e32 v5, 4, v6
	v_add_lshl_u32 v5, v5, v2, 2
	ds_bpermute_b32 v5, v5, v4
	v_add_lshl_u32 v2, v3, v2, 2
	s_waitcnt lgkmcnt(0)
	v_add_f32_e32 v6, v4, v5
	ds_bpermute_b32 v2, v2, v6
	v_mov_b32_e32 v5, 0
	v_and_b32_e32 v4, 63, v0
	v_cmp_eq_u64_e32 vcc, 0, v[4:5]
	s_waitcnt lgkmcnt(0)
	v_add_f32_e32 v2, v6, v2
	s_and_saveexec_b64 s[2:3], vcc
	s_cbranch_execz .LBB11_8
; %bb.7:
	v_lshrrev_b32_e32 v3, 4, v0
	v_and_b32_e32 v3, 4, v3
	ds_write_b32 v3, v2
.LBB11_8:
	s_or_b64 exec, exec, s[2:3]
	v_cmp_eq_u32_e32 vcc, 0, v0
	s_waitcnt lgkmcnt(0)
	s_barrier
	s_and_saveexec_b64 s[2:3], vcc
	s_cbranch_execz .LBB11_10
; %bb.9:
	v_mov_b32_e32 v3, 0
	ds_read_b32 v4, v3 offset:4
	s_waitcnt lgkmcnt(0)
	v_add_f32_e32 v2, v2, v4
	ds_write_b32 v3, v2
.LBB11_10:
	s_or_b64 exec, exec, s[2:3]
	s_waitcnt lgkmcnt(0)
	s_barrier
	s_and_saveexec_b64 s[16:17], vcc
	s_cbranch_execz .LBB11_20
; %bb.11:
	s_mul_i32 s2, s7, s15
	s_mul_hi_u32 s3, s7, s14
	s_add_i32 s3, s3, s2
	s_mul_i32 s2, s7, s14
	s_lshl_b64 s[2:3], s[2:3], 2
	s_add_u32 s6, s10, s2
	s_addc_u32 s9, s11, s3
	s_lshl_b64 s[2:3], s[12:13], 2
	s_add_u32 s10, s6, s2
	s_addc_u32 s11, s9, s3
	s_mul_i32 s2, s7, s19
	s_mul_hi_u32 s3, s7, s18
	v_mov_b32_e32 v2, 0
	s_add_i32 s3, s3, s2
	s_mul_i32 s2, s7, s18
	ds_read_b32 v3, v2
	s_lshl_b64 s[2:3], s[2:3], 2
	s_add_u32 s6, s30, s2
	s_addc_u32 s7, s31, s3
	s_cmp_eq_u64 s[34:35], 0
	s_cselect_b64 s[2:3], -1, 0
	s_cmp_lg_u64 s[34:35], 0
	s_waitcnt lgkmcnt(0)
	v_cmp_nlt_f32_e32 vcc, 0, v3
	s_mov_b64 s[14:15], 0
	s_cselect_b64 s[12:13], -1, 0
	s_cbranch_vccz .LBB11_14
; %bb.12:
	v_mov_b32_e32 v4, 1.0
	s_mov_b64 s[20:21], 0
	s_and_b64 vcc, exec, s[12:13]
	ds_write_b32 v2, v4
	global_store_dword v2, v2, s[6:7]
	s_cbranch_vccz .LBB11_15
; %bb.13:
	v_mov_b32_e32 v2, 0
	global_load_dword v2, v2, s[10:11]
	s_mov_b64 s[18:19], -1
	s_and_b64 vcc, exec, s[20:21]
	s_cbranch_vccnz .LBB11_16
	s_branch .LBB11_17
.LBB11_14:
	s_mov_b64 s[20:21], -1
.LBB11_15:
	s_mov_b64 s[18:19], 0
                                        ; implicit-def: $vgpr2
	s_and_b64 vcc, exec, s[20:21]
	s_cbranch_vccz .LBB11_17
.LBB11_16:
	v_mov_b32_e32 v4, 0
	global_load_dword v5, v4, s[10:11]
	s_mov_b32 s9, 0xf800000
	s_mov_b64 s[14:15], s[2:3]
	v_mov_b32_e32 v6, 0x260
	s_mov_b64 s[18:19], s[12:13]
	s_waitcnt vmcnt(0)
	v_fmac_f32_e32 v3, v5, v5
	v_mul_f32_e32 v2, 0x4f800000, v3
	v_cmp_gt_f32_e32 vcc, s9, v3
	v_cndmask_b32_e32 v2, v3, v2, vcc
	v_sqrt_f32_e32 v3, v2
	v_add_u32_e32 v7, -1, v3
	v_add_u32_e32 v8, 1, v3
	v_fma_f32 v9, -v7, v3, v2
	v_fma_f32 v10, -v8, v3, v2
	v_cmp_ge_f32_e64 s[2:3], 0, v9
	v_cndmask_b32_e64 v3, v3, v7, s[2:3]
	v_cmp_lt_f32_e64 s[2:3], 0, v10
	v_cndmask_b32_e64 v3, v3, v8, s[2:3]
	v_mul_f32_e32 v7, 0x37800000, v3
	v_cndmask_b32_e32 v3, v3, v7, vcc
	v_cmp_class_f32_e32 vcc, v2, v6
	v_cndmask_b32_e32 v2, v3, v2, vcc
	v_cmp_le_f32_e32 vcc, 0, v5
	v_cndmask_b32_e64 v2, v2, -v2, vcc
	v_sub_f32_e32 v3, v5, v2
	v_sub_f32_e32 v5, v2, v5
	v_div_scale_f32 v6, s[2:3], v3, v3, 1.0
	v_div_scale_f32 v8, s[2:3], v2, v2, v5
	v_rcp_f32_e32 v9, v6
	v_rcp_f32_e32 v10, v8
	v_div_scale_f32 v7, vcc, 1.0, v3, 1.0
	v_fma_f32 v12, -v6, v9, 1.0
	v_fma_f32 v13, -v8, v10, 1.0
	v_fmac_f32_e32 v9, v12, v9
	v_div_scale_f32 v11, s[2:3], v5, v2, v5
	v_fmac_f32_e32 v10, v13, v10
	v_mul_f32_e32 v12, v7, v9
	v_mul_f32_e32 v13, v11, v10
	v_fma_f32 v14, -v6, v12, v7
	v_fma_f32 v15, -v8, v13, v11
	v_fmac_f32_e32 v12, v14, v9
	v_fmac_f32_e32 v13, v15, v10
	v_fma_f32 v6, -v6, v12, v7
	v_fma_f32 v7, -v8, v13, v11
	v_div_fmas_f32 v6, v6, v9, v12
	s_mov_b64 vcc, s[2:3]
	v_div_fixup_f32 v3, v6, v3, 1.0
	v_div_fmas_f32 v6, v7, v10, v13
	ds_write_b32 v4, v3
	v_div_fixup_f32 v3, v6, v2, v5
	global_store_dword v4, v3, s[6:7]
.LBB11_17:
	s_andn2_b64 vcc, exec, s[18:19]
	s_cbranch_vccz .LBB11_24
; %bb.18:
	s_andn2_b64 vcc, exec, s[14:15]
	s_cbranch_vccnz .LBB11_20
.LBB11_19:
	v_mov_b32_e32 v3, 0
	s_waitcnt vmcnt(0)
	global_store_dword v3, v2, s[10:11]
.LBB11_20:
	s_or_b64 exec, exec, s[16:17]
	s_waitcnt lgkmcnt(0)
	s_barrier
	s_and_saveexec_b64 s[2:3], s[0:1]
	s_cbranch_execz .LBB11_23
; %bb.21:
	s_waitcnt vmcnt(0)
	v_mov_b32_e32 v2, 0
	ds_read_b32 v4, v2
	v_mad_u64_u32 v[2:3], s[2:3], s26, v0, 0
	v_mov_b32_e32 v6, v3
	s_add_i32 s9, s36, s33
	v_mad_u64_u32 v[6:7], s[2:3], s27, v0, v[6:7]
	s_lshl_b64 s[0:1], s[8:9], 2
	s_lshl_b64 s[2:3], s[24:25], 2
	s_add_u32 s2, s22, s2
	s_addc_u32 s3, s23, s3
	v_mov_b32_e32 v3, v6
	s_add_u32 s0, s2, s0
	v_lshlrev_b64 v[2:3], 2, v[2:3]
	s_addc_u32 s1, s3, s1
	v_mov_b32_e32 v5, s1
	v_add_co_u32_e32 v2, vcc, s0, v2
	s_lshl_b64 s[0:1], s[26:27], 9
	v_addc_co_u32_e32 v3, vcc, v5, v3, vcc
	s_mov_b64 s[2:3], 0
	v_mov_b32_e32 v5, s1
.LBB11_22:                              ; =>This Inner Loop Header: Depth=1
	global_load_dword v6, v[2:3], off
	v_add_co_u32_e32 v0, vcc, 0x80, v0
	v_addc_co_u32_e32 v1, vcc, 0, v1, vcc
	v_cmp_le_i64_e32 vcc, s[4:5], v[0:1]
	s_or_b64 s[2:3], vcc, s[2:3]
	s_waitcnt vmcnt(0) lgkmcnt(0)
	v_mul_f32_e32 v6, v4, v6
	global_store_dword v[2:3], v6, off
	v_add_co_u32_e32 v2, vcc, s0, v2
	v_addc_co_u32_e32 v3, vcc, v3, v5, vcc
	s_andn2_b64 exec, exec, s[2:3]
	s_cbranch_execnz .LBB11_22
.LBB11_23:
	s_endpgm
.LBB11_24:
	v_pk_mov_b32 v[4:5], s[34:35], s[34:35] op_sel:[0,1]
	s_waitcnt vmcnt(0)
	flat_store_dword v[4:5], v2
	v_mov_b32_e32 v2, 1.0
	s_branch .LBB11_19
	.section	.rodata,"a",@progbits
	.p2align	6, 0x0
	.amdhsa_kernel _ZN9rocsolver6v33100L18larfg_kernel_smallILi128EflfPfEEvT1_T3_llPT2_llS4_lS3_lPT0_l
		.amdhsa_group_segment_fixed_size 8
		.amdhsa_private_segment_fixed_size 0
		.amdhsa_kernarg_size 104
		.amdhsa_user_sgpr_count 6
		.amdhsa_user_sgpr_private_segment_buffer 1
		.amdhsa_user_sgpr_dispatch_ptr 0
		.amdhsa_user_sgpr_queue_ptr 0
		.amdhsa_user_sgpr_kernarg_segment_ptr 1
		.amdhsa_user_sgpr_dispatch_id 0
		.amdhsa_user_sgpr_flat_scratch_init 0
		.amdhsa_user_sgpr_kernarg_preload_length 0
		.amdhsa_user_sgpr_kernarg_preload_offset 0
		.amdhsa_user_sgpr_private_segment_size 0
		.amdhsa_uses_dynamic_stack 0
		.amdhsa_system_sgpr_private_segment_wavefront_offset 0
		.amdhsa_system_sgpr_workgroup_id_x 1
		.amdhsa_system_sgpr_workgroup_id_y 0
		.amdhsa_system_sgpr_workgroup_id_z 1
		.amdhsa_system_sgpr_workgroup_info 0
		.amdhsa_system_vgpr_workitem_id 0
		.amdhsa_next_free_vgpr 16
		.amdhsa_next_free_sgpr 37
		.amdhsa_accum_offset 16
		.amdhsa_reserve_vcc 1
		.amdhsa_reserve_flat_scratch 0
		.amdhsa_float_round_mode_32 0
		.amdhsa_float_round_mode_16_64 0
		.amdhsa_float_denorm_mode_32 3
		.amdhsa_float_denorm_mode_16_64 3
		.amdhsa_dx10_clamp 1
		.amdhsa_ieee_mode 1
		.amdhsa_fp16_overflow 0
		.amdhsa_tg_split 0
		.amdhsa_exception_fp_ieee_invalid_op 0
		.amdhsa_exception_fp_denorm_src 0
		.amdhsa_exception_fp_ieee_div_zero 0
		.amdhsa_exception_fp_ieee_overflow 0
		.amdhsa_exception_fp_ieee_underflow 0
		.amdhsa_exception_fp_ieee_inexact 0
		.amdhsa_exception_int_div_zero 0
	.end_amdhsa_kernel
	.section	.text._ZN9rocsolver6v33100L18larfg_kernel_smallILi128EflfPfEEvT1_T3_llPT2_llS4_lS3_lPT0_l,"axG",@progbits,_ZN9rocsolver6v33100L18larfg_kernel_smallILi128EflfPfEEvT1_T3_llPT2_llS4_lS3_lPT0_l,comdat
.Lfunc_end11:
	.size	_ZN9rocsolver6v33100L18larfg_kernel_smallILi128EflfPfEEvT1_T3_llPT2_llS4_lS3_lPT0_l, .Lfunc_end11-_ZN9rocsolver6v33100L18larfg_kernel_smallILi128EflfPfEEvT1_T3_llPT2_llS4_lS3_lPT0_l
                                        ; -- End function
	.section	.AMDGPU.csdata,"",@progbits
; Kernel info:
; codeLenInByte = 1408
; NumSgprs: 41
; NumVgprs: 16
; NumAgprs: 0
; TotalNumVgprs: 16
; ScratchSize: 0
; MemoryBound: 0
; FloatMode: 240
; IeeeMode: 1
; LDSByteSize: 8 bytes/workgroup (compile time only)
; SGPRBlocks: 5
; VGPRBlocks: 1
; NumSGPRsForWavesPerEU: 41
; NumVGPRsForWavesPerEU: 16
; AccumOffset: 16
; Occupancy: 8
; WaveLimiterHint : 0
; COMPUTE_PGM_RSRC2:SCRATCH_EN: 0
; COMPUTE_PGM_RSRC2:USER_SGPR: 6
; COMPUTE_PGM_RSRC2:TRAP_HANDLER: 0
; COMPUTE_PGM_RSRC2:TGID_X_EN: 1
; COMPUTE_PGM_RSRC2:TGID_Y_EN: 0
; COMPUTE_PGM_RSRC2:TGID_Z_EN: 1
; COMPUTE_PGM_RSRC2:TIDIG_COMP_CNT: 0
; COMPUTE_PGM_RSRC3_GFX90A:ACCUM_OFFSET: 3
; COMPUTE_PGM_RSRC3_GFX90A:TG_SPLIT: 0
	.section	.text._ZN9rocsolver6v33100L18larfg_kernel_smallILi256EflfPfEEvT1_T3_llPT2_llS4_lS3_lPT0_l,"axG",@progbits,_ZN9rocsolver6v33100L18larfg_kernel_smallILi256EflfPfEEvT1_T3_llPT2_llS4_lS3_lPT0_l,comdat
	.globl	_ZN9rocsolver6v33100L18larfg_kernel_smallILi256EflfPfEEvT1_T3_llPT2_llS4_lS3_lPT0_l ; -- Begin function _ZN9rocsolver6v33100L18larfg_kernel_smallILi256EflfPfEEvT1_T3_llPT2_llS4_lS3_lPT0_l
	.p2align	8
	.type	_ZN9rocsolver6v33100L18larfg_kernel_smallILi256EflfPfEEvT1_T3_llPT2_llS4_lS3_lPT0_l,@function
_ZN9rocsolver6v33100L18larfg_kernel_smallILi256EflfPfEEvT1_T3_llPT2_llS4_lS3_lPT0_l: ; @_ZN9rocsolver6v33100L18larfg_kernel_smallILi256EflfPfEEvT1_T3_llPT2_llS4_lS3_lPT0_l
; %bb.0:
	s_load_dwordx16 s[8:23], s[4:5], 0x0
	s_mov_b64 s[34:35], 0
	s_waitcnt lgkmcnt(0)
	s_cmp_eq_u64 s[16:17], 0
	s_cbranch_scc1 .LBB12_2
; %bb.1:
	s_mul_i32 s0, s7, s21
	s_mul_hi_u32 s1, s7, s20
	s_add_i32 s1, s1, s0
	s_mul_i32 s0, s7, s20
	s_lshl_b64 s[0:1], s[0:1], 2
	s_add_u32 s2, s16, s0
	s_addc_u32 s3, s17, s1
	s_lshl_b64 s[0:1], s[18:19], 2
	s_add_u32 s34, s2, s0
	s_addc_u32 s35, s3, s1
.LBB12_2:
	s_load_dwordx8 s[24:31], s[4:5], 0x40
	s_load_dwordx2 s[18:19], s[4:5], 0x60
	s_add_u32 s4, s8, -1
	v_mov_b32_e32 v1, 0
	s_addc_u32 s5, s9, -1
	v_cmp_gt_i64_e64 s[0:1], s[4:5], v[0:1]
	s_waitcnt lgkmcnt(0)
	s_mul_i32 s33, s29, s7
	s_mul_hi_u32 s36, s28, s7
	s_mul_i32 s8, s28, s7
	v_mov_b32_e32 v6, v1
	s_and_saveexec_b64 s[16:17], s[0:1]
	s_cbranch_execz .LBB12_6
; %bb.3:
	v_mad_u64_u32 v[2:3], s[20:21], s26, v0, 0
	v_mov_b32_e32 v4, v3
	s_add_i32 s9, s36, s33
	v_mad_u64_u32 v[4:5], s[20:21], s27, v0, v[4:5]
	s_lshl_b64 s[2:3], s[8:9], 2
	s_lshl_b64 s[20:21], s[24:25], 2
	s_add_u32 s6, s22, s20
	s_addc_u32 s9, s23, s21
	v_mov_b32_e32 v3, v4
	s_add_u32 s2, s6, s2
	v_lshlrev_b64 v[2:3], 2, v[2:3]
	s_addc_u32 s3, s9, s3
	v_mov_b32_e32 v4, s3
	v_add_co_u32_e32 v2, vcc, s2, v2
	s_lshl_b64 s[28:29], s[26:27], 10
	v_addc_co_u32_e32 v3, vcc, v4, v3, vcc
	s_mov_b64 s[20:21], 0
	v_mov_b32_e32 v6, 0
	v_mov_b32_e32 v7, s29
	v_pk_mov_b32 v[4:5], v[0:1], v[0:1] op_sel:[0,1]
.LBB12_4:                               ; =>This Inner Loop Header: Depth=1
	global_load_dword v8, v[2:3], off
	v_add_co_u32_e32 v4, vcc, 0x100, v4
	v_addc_co_u32_e32 v5, vcc, 0, v5, vcc
	v_add_co_u32_e64 v2, s[2:3], s28, v2
	v_cmp_le_i64_e32 vcc, s[4:5], v[4:5]
	v_addc_co_u32_e64 v3, s[2:3], v3, v7, s[2:3]
	s_or_b64 s[20:21], vcc, s[20:21]
	s_waitcnt vmcnt(0)
	v_mul_f32_e32 v8, v8, v8
	v_add_f32_e32 v6, v6, v8
	s_andn2_b64 exec, exec, s[20:21]
	s_cbranch_execnz .LBB12_4
; %bb.5:
	s_or_b64 exec, exec, s[20:21]
.LBB12_6:
	s_or_b64 exec, exec, s[16:17]
	v_mbcnt_lo_u32_b32 v2, -1, 0
	v_mbcnt_hi_u32_b32 v2, -1, v2
	v_and_b32_e32 v3, 63, v2
	v_cmp_ne_u32_e32 vcc, 63, v3
	v_addc_co_u32_e32 v4, vcc, 0, v2, vcc
	v_lshlrev_b32_e32 v4, 2, v4
	ds_bpermute_b32 v4, v4, v6
	v_cmp_gt_u32_e32 vcc, 62, v3
	v_cndmask_b32_e64 v5, 0, 1, vcc
	v_lshlrev_b32_e32 v5, 1, v5
	v_add_lshl_u32 v5, v5, v2, 2
	s_waitcnt lgkmcnt(0)
	v_add_f32_e32 v4, v6, v4
	ds_bpermute_b32 v5, v5, v4
	v_cmp_gt_u32_e32 vcc, 60, v3
	v_cndmask_b32_e64 v6, 0, 1, vcc
	v_cmp_gt_u32_e32 vcc, 56, v3
	s_waitcnt lgkmcnt(0)
	v_add_f32_e32 v4, v4, v5
	v_lshlrev_b32_e32 v5, 2, v6
	v_add_lshl_u32 v5, v5, v2, 2
	ds_bpermute_b32 v5, v5, v4
	v_cndmask_b32_e64 v6, 0, 1, vcc
	v_cmp_gt_u32_e32 vcc, 48, v3
	s_waitcnt lgkmcnt(0)
	v_add_f32_e32 v4, v4, v5
	v_lshlrev_b32_e32 v5, 3, v6
	v_add_lshl_u32 v5, v5, v2, 2
	ds_bpermute_b32 v5, v5, v4
	v_cndmask_b32_e64 v6, 0, 1, vcc
	v_cmp_gt_u32_e32 vcc, 32, v3
	v_cndmask_b32_e64 v3, 0, 1, vcc
	v_lshlrev_b32_e32 v3, 5, v3
	s_waitcnt lgkmcnt(0)
	v_add_f32_e32 v4, v4, v5
	v_lshlrev_b32_e32 v5, 4, v6
	v_add_lshl_u32 v5, v5, v2, 2
	ds_bpermute_b32 v5, v5, v4
	v_add_lshl_u32 v2, v3, v2, 2
	s_waitcnt lgkmcnt(0)
	v_add_f32_e32 v6, v4, v5
	ds_bpermute_b32 v2, v2, v6
	v_mov_b32_e32 v5, 0
	v_and_b32_e32 v4, 63, v0
	v_cmp_eq_u64_e32 vcc, 0, v[4:5]
	s_waitcnt lgkmcnt(0)
	v_add_f32_e32 v2, v6, v2
	s_and_saveexec_b64 s[2:3], vcc
	s_cbranch_execz .LBB12_8
; %bb.7:
	v_lshrrev_b32_e32 v3, 4, v0
	v_and_b32_e32 v3, 12, v3
	ds_write_b32 v3, v2
.LBB12_8:
	s_or_b64 exec, exec, s[2:3]
	v_cmp_eq_u32_e32 vcc, 0, v0
	s_waitcnt lgkmcnt(0)
	s_barrier
	s_and_saveexec_b64 s[2:3], vcc
	s_cbranch_execz .LBB12_10
; %bb.9:
	v_mov_b32_e32 v3, 0
	ds_read2_b32 v[4:5], v3 offset0:1 offset1:2
	ds_read_b32 v6, v3 offset:12
	s_waitcnt lgkmcnt(1)
	v_add_f32_e32 v2, v2, v4
	v_add_f32_e32 v2, v2, v5
	s_waitcnt lgkmcnt(0)
	v_add_f32_e32 v2, v2, v6
	ds_write_b32 v3, v2
.LBB12_10:
	s_or_b64 exec, exec, s[2:3]
	s_waitcnt lgkmcnt(0)
	s_barrier
	s_and_saveexec_b64 s[16:17], vcc
	s_cbranch_execz .LBB12_20
; %bb.11:
	s_mul_i32 s2, s7, s15
	s_mul_hi_u32 s3, s7, s14
	s_add_i32 s3, s3, s2
	s_mul_i32 s2, s7, s14
	s_lshl_b64 s[2:3], s[2:3], 2
	s_add_u32 s6, s10, s2
	s_addc_u32 s9, s11, s3
	s_lshl_b64 s[2:3], s[12:13], 2
	s_add_u32 s10, s6, s2
	s_addc_u32 s11, s9, s3
	s_mul_i32 s2, s7, s19
	s_mul_hi_u32 s3, s7, s18
	v_mov_b32_e32 v2, 0
	s_add_i32 s3, s3, s2
	s_mul_i32 s2, s7, s18
	ds_read_b32 v3, v2
	s_lshl_b64 s[2:3], s[2:3], 2
	s_add_u32 s6, s30, s2
	s_addc_u32 s7, s31, s3
	s_cmp_eq_u64 s[34:35], 0
	s_cselect_b64 s[2:3], -1, 0
	s_cmp_lg_u64 s[34:35], 0
	s_waitcnt lgkmcnt(0)
	v_cmp_nlt_f32_e32 vcc, 0, v3
	s_mov_b64 s[14:15], 0
	s_cselect_b64 s[12:13], -1, 0
	s_cbranch_vccz .LBB12_14
; %bb.12:
	v_mov_b32_e32 v4, 1.0
	s_mov_b64 s[20:21], 0
	s_and_b64 vcc, exec, s[12:13]
	ds_write_b32 v2, v4
	global_store_dword v2, v2, s[6:7]
	s_cbranch_vccz .LBB12_15
; %bb.13:
	v_mov_b32_e32 v2, 0
	global_load_dword v2, v2, s[10:11]
	s_mov_b64 s[18:19], -1
	s_and_b64 vcc, exec, s[20:21]
	s_cbranch_vccnz .LBB12_16
	s_branch .LBB12_17
.LBB12_14:
	s_mov_b64 s[20:21], -1
.LBB12_15:
	s_mov_b64 s[18:19], 0
                                        ; implicit-def: $vgpr2
	s_and_b64 vcc, exec, s[20:21]
	s_cbranch_vccz .LBB12_17
.LBB12_16:
	v_mov_b32_e32 v4, 0
	global_load_dword v5, v4, s[10:11]
	s_mov_b32 s9, 0xf800000
	s_mov_b64 s[14:15], s[2:3]
	v_mov_b32_e32 v6, 0x260
	s_mov_b64 s[18:19], s[12:13]
	s_waitcnt vmcnt(0)
	v_fmac_f32_e32 v3, v5, v5
	v_mul_f32_e32 v2, 0x4f800000, v3
	v_cmp_gt_f32_e32 vcc, s9, v3
	v_cndmask_b32_e32 v2, v3, v2, vcc
	v_sqrt_f32_e32 v3, v2
	v_add_u32_e32 v7, -1, v3
	v_add_u32_e32 v8, 1, v3
	v_fma_f32 v9, -v7, v3, v2
	v_fma_f32 v10, -v8, v3, v2
	v_cmp_ge_f32_e64 s[2:3], 0, v9
	v_cndmask_b32_e64 v3, v3, v7, s[2:3]
	v_cmp_lt_f32_e64 s[2:3], 0, v10
	v_cndmask_b32_e64 v3, v3, v8, s[2:3]
	v_mul_f32_e32 v7, 0x37800000, v3
	v_cndmask_b32_e32 v3, v3, v7, vcc
	v_cmp_class_f32_e32 vcc, v2, v6
	v_cndmask_b32_e32 v2, v3, v2, vcc
	v_cmp_le_f32_e32 vcc, 0, v5
	v_cndmask_b32_e64 v2, v2, -v2, vcc
	v_sub_f32_e32 v3, v5, v2
	v_sub_f32_e32 v5, v2, v5
	v_div_scale_f32 v6, s[2:3], v3, v3, 1.0
	v_div_scale_f32 v8, s[2:3], v2, v2, v5
	v_rcp_f32_e32 v9, v6
	v_rcp_f32_e32 v10, v8
	v_div_scale_f32 v7, vcc, 1.0, v3, 1.0
	v_fma_f32 v12, -v6, v9, 1.0
	v_fma_f32 v13, -v8, v10, 1.0
	v_fmac_f32_e32 v9, v12, v9
	v_div_scale_f32 v11, s[2:3], v5, v2, v5
	v_fmac_f32_e32 v10, v13, v10
	v_mul_f32_e32 v12, v7, v9
	v_mul_f32_e32 v13, v11, v10
	v_fma_f32 v14, -v6, v12, v7
	v_fma_f32 v15, -v8, v13, v11
	v_fmac_f32_e32 v12, v14, v9
	v_fmac_f32_e32 v13, v15, v10
	v_fma_f32 v6, -v6, v12, v7
	v_fma_f32 v7, -v8, v13, v11
	v_div_fmas_f32 v6, v6, v9, v12
	s_mov_b64 vcc, s[2:3]
	v_div_fixup_f32 v3, v6, v3, 1.0
	v_div_fmas_f32 v6, v7, v10, v13
	ds_write_b32 v4, v3
	v_div_fixup_f32 v3, v6, v2, v5
	global_store_dword v4, v3, s[6:7]
.LBB12_17:
	s_andn2_b64 vcc, exec, s[18:19]
	s_cbranch_vccz .LBB12_24
; %bb.18:
	s_andn2_b64 vcc, exec, s[14:15]
	s_cbranch_vccnz .LBB12_20
.LBB12_19:
	v_mov_b32_e32 v3, 0
	s_waitcnt vmcnt(0)
	global_store_dword v3, v2, s[10:11]
.LBB12_20:
	s_or_b64 exec, exec, s[16:17]
	s_waitcnt lgkmcnt(0)
	s_barrier
	s_and_saveexec_b64 s[2:3], s[0:1]
	s_cbranch_execz .LBB12_23
; %bb.21:
	s_waitcnt vmcnt(0)
	v_mov_b32_e32 v2, 0
	ds_read_b32 v4, v2
	v_mad_u64_u32 v[2:3], s[2:3], s26, v0, 0
	v_mov_b32_e32 v6, v3
	s_add_i32 s9, s36, s33
	v_mad_u64_u32 v[6:7], s[2:3], s27, v0, v[6:7]
	s_lshl_b64 s[0:1], s[8:9], 2
	s_lshl_b64 s[2:3], s[24:25], 2
	s_add_u32 s2, s22, s2
	s_addc_u32 s3, s23, s3
	v_mov_b32_e32 v3, v6
	s_add_u32 s0, s2, s0
	v_lshlrev_b64 v[2:3], 2, v[2:3]
	s_addc_u32 s1, s3, s1
	v_mov_b32_e32 v5, s1
	v_add_co_u32_e32 v2, vcc, s0, v2
	s_lshl_b64 s[0:1], s[26:27], 10
	v_addc_co_u32_e32 v3, vcc, v5, v3, vcc
	s_mov_b64 s[2:3], 0
	v_mov_b32_e32 v5, s1
.LBB12_22:                              ; =>This Inner Loop Header: Depth=1
	global_load_dword v6, v[2:3], off
	v_add_co_u32_e32 v0, vcc, 0x100, v0
	v_addc_co_u32_e32 v1, vcc, 0, v1, vcc
	v_cmp_le_i64_e32 vcc, s[4:5], v[0:1]
	s_or_b64 s[2:3], vcc, s[2:3]
	s_waitcnt vmcnt(0) lgkmcnt(0)
	v_mul_f32_e32 v6, v4, v6
	global_store_dword v[2:3], v6, off
	v_add_co_u32_e32 v2, vcc, s0, v2
	v_addc_co_u32_e32 v3, vcc, v3, v5, vcc
	s_andn2_b64 exec, exec, s[2:3]
	s_cbranch_execnz .LBB12_22
.LBB12_23:
	s_endpgm
.LBB12_24:
	v_pk_mov_b32 v[4:5], s[34:35], s[34:35] op_sel:[0,1]
	s_waitcnt vmcnt(0)
	flat_store_dword v[4:5], v2
	v_mov_b32_e32 v2, 1.0
	s_branch .LBB12_19
	.section	.rodata,"a",@progbits
	.p2align	6, 0x0
	.amdhsa_kernel _ZN9rocsolver6v33100L18larfg_kernel_smallILi256EflfPfEEvT1_T3_llPT2_llS4_lS3_lPT0_l
		.amdhsa_group_segment_fixed_size 16
		.amdhsa_private_segment_fixed_size 0
		.amdhsa_kernarg_size 104
		.amdhsa_user_sgpr_count 6
		.amdhsa_user_sgpr_private_segment_buffer 1
		.amdhsa_user_sgpr_dispatch_ptr 0
		.amdhsa_user_sgpr_queue_ptr 0
		.amdhsa_user_sgpr_kernarg_segment_ptr 1
		.amdhsa_user_sgpr_dispatch_id 0
		.amdhsa_user_sgpr_flat_scratch_init 0
		.amdhsa_user_sgpr_kernarg_preload_length 0
		.amdhsa_user_sgpr_kernarg_preload_offset 0
		.amdhsa_user_sgpr_private_segment_size 0
		.amdhsa_uses_dynamic_stack 0
		.amdhsa_system_sgpr_private_segment_wavefront_offset 0
		.amdhsa_system_sgpr_workgroup_id_x 1
		.amdhsa_system_sgpr_workgroup_id_y 0
		.amdhsa_system_sgpr_workgroup_id_z 1
		.amdhsa_system_sgpr_workgroup_info 0
		.amdhsa_system_vgpr_workitem_id 0
		.amdhsa_next_free_vgpr 16
		.amdhsa_next_free_sgpr 37
		.amdhsa_accum_offset 16
		.amdhsa_reserve_vcc 1
		.amdhsa_reserve_flat_scratch 0
		.amdhsa_float_round_mode_32 0
		.amdhsa_float_round_mode_16_64 0
		.amdhsa_float_denorm_mode_32 3
		.amdhsa_float_denorm_mode_16_64 3
		.amdhsa_dx10_clamp 1
		.amdhsa_ieee_mode 1
		.amdhsa_fp16_overflow 0
		.amdhsa_tg_split 0
		.amdhsa_exception_fp_ieee_invalid_op 0
		.amdhsa_exception_fp_denorm_src 0
		.amdhsa_exception_fp_ieee_div_zero 0
		.amdhsa_exception_fp_ieee_overflow 0
		.amdhsa_exception_fp_ieee_underflow 0
		.amdhsa_exception_fp_ieee_inexact 0
		.amdhsa_exception_int_div_zero 0
	.end_amdhsa_kernel
	.section	.text._ZN9rocsolver6v33100L18larfg_kernel_smallILi256EflfPfEEvT1_T3_llPT2_llS4_lS3_lPT0_l,"axG",@progbits,_ZN9rocsolver6v33100L18larfg_kernel_smallILi256EflfPfEEvT1_T3_llPT2_llS4_lS3_lPT0_l,comdat
.Lfunc_end12:
	.size	_ZN9rocsolver6v33100L18larfg_kernel_smallILi256EflfPfEEvT1_T3_llPT2_llS4_lS3_lPT0_l, .Lfunc_end12-_ZN9rocsolver6v33100L18larfg_kernel_smallILi256EflfPfEEvT1_T3_llPT2_llS4_lS3_lPT0_l
                                        ; -- End function
	.section	.AMDGPU.csdata,"",@progbits
; Kernel info:
; codeLenInByte = 1428
; NumSgprs: 41
; NumVgprs: 16
; NumAgprs: 0
; TotalNumVgprs: 16
; ScratchSize: 0
; MemoryBound: 0
; FloatMode: 240
; IeeeMode: 1
; LDSByteSize: 16 bytes/workgroup (compile time only)
; SGPRBlocks: 5
; VGPRBlocks: 1
; NumSGPRsForWavesPerEU: 41
; NumVGPRsForWavesPerEU: 16
; AccumOffset: 16
; Occupancy: 8
; WaveLimiterHint : 0
; COMPUTE_PGM_RSRC2:SCRATCH_EN: 0
; COMPUTE_PGM_RSRC2:USER_SGPR: 6
; COMPUTE_PGM_RSRC2:TRAP_HANDLER: 0
; COMPUTE_PGM_RSRC2:TGID_X_EN: 1
; COMPUTE_PGM_RSRC2:TGID_Y_EN: 0
; COMPUTE_PGM_RSRC2:TGID_Z_EN: 1
; COMPUTE_PGM_RSRC2:TIDIG_COMP_CNT: 0
; COMPUTE_PGM_RSRC3_GFX90A:ACCUM_OFFSET: 3
; COMPUTE_PGM_RSRC3_GFX90A:TG_SPLIT: 0
	.section	.text._ZN9rocsolver6v33100L18larfg_kernel_smallILi512EflfPfEEvT1_T3_llPT2_llS4_lS3_lPT0_l,"axG",@progbits,_ZN9rocsolver6v33100L18larfg_kernel_smallILi512EflfPfEEvT1_T3_llPT2_llS4_lS3_lPT0_l,comdat
	.globl	_ZN9rocsolver6v33100L18larfg_kernel_smallILi512EflfPfEEvT1_T3_llPT2_llS4_lS3_lPT0_l ; -- Begin function _ZN9rocsolver6v33100L18larfg_kernel_smallILi512EflfPfEEvT1_T3_llPT2_llS4_lS3_lPT0_l
	.p2align	8
	.type	_ZN9rocsolver6v33100L18larfg_kernel_smallILi512EflfPfEEvT1_T3_llPT2_llS4_lS3_lPT0_l,@function
_ZN9rocsolver6v33100L18larfg_kernel_smallILi512EflfPfEEvT1_T3_llPT2_llS4_lS3_lPT0_l: ; @_ZN9rocsolver6v33100L18larfg_kernel_smallILi512EflfPfEEvT1_T3_llPT2_llS4_lS3_lPT0_l
; %bb.0:
	s_load_dwordx16 s[8:23], s[4:5], 0x0
	s_mov_b64 s[34:35], 0
	s_waitcnt lgkmcnt(0)
	s_cmp_eq_u64 s[16:17], 0
	s_cbranch_scc1 .LBB13_2
; %bb.1:
	s_mul_i32 s0, s7, s21
	s_mul_hi_u32 s1, s7, s20
	s_add_i32 s1, s1, s0
	s_mul_i32 s0, s7, s20
	s_lshl_b64 s[0:1], s[0:1], 2
	s_add_u32 s2, s16, s0
	s_addc_u32 s3, s17, s1
	s_lshl_b64 s[0:1], s[18:19], 2
	s_add_u32 s34, s2, s0
	s_addc_u32 s35, s3, s1
.LBB13_2:
	s_load_dwordx8 s[24:31], s[4:5], 0x40
	s_load_dwordx2 s[18:19], s[4:5], 0x60
	s_add_u32 s4, s8, -1
	v_mov_b32_e32 v1, 0
	s_addc_u32 s5, s9, -1
	v_cmp_gt_i64_e64 s[0:1], s[4:5], v[0:1]
	s_waitcnt lgkmcnt(0)
	s_mul_i32 s33, s29, s7
	s_mul_hi_u32 s36, s28, s7
	s_mul_i32 s8, s28, s7
	v_mov_b32_e32 v6, v1
	s_and_saveexec_b64 s[16:17], s[0:1]
	s_cbranch_execz .LBB13_6
; %bb.3:
	v_mad_u64_u32 v[2:3], s[20:21], s26, v0, 0
	v_mov_b32_e32 v4, v3
	s_add_i32 s9, s36, s33
	v_mad_u64_u32 v[4:5], s[20:21], s27, v0, v[4:5]
	s_lshl_b64 s[2:3], s[8:9], 2
	s_lshl_b64 s[20:21], s[24:25], 2
	s_add_u32 s6, s22, s20
	s_addc_u32 s9, s23, s21
	v_mov_b32_e32 v3, v4
	s_add_u32 s2, s6, s2
	v_lshlrev_b64 v[2:3], 2, v[2:3]
	s_addc_u32 s3, s9, s3
	v_mov_b32_e32 v4, s3
	v_add_co_u32_e32 v2, vcc, s2, v2
	s_lshl_b64 s[28:29], s[26:27], 11
	v_addc_co_u32_e32 v3, vcc, v4, v3, vcc
	s_mov_b64 s[20:21], 0
	v_mov_b32_e32 v6, 0
	v_mov_b32_e32 v7, s29
	v_pk_mov_b32 v[4:5], v[0:1], v[0:1] op_sel:[0,1]
.LBB13_4:                               ; =>This Inner Loop Header: Depth=1
	global_load_dword v8, v[2:3], off
	v_add_co_u32_e32 v4, vcc, 0x200, v4
	v_addc_co_u32_e32 v5, vcc, 0, v5, vcc
	v_add_co_u32_e64 v2, s[2:3], s28, v2
	v_cmp_le_i64_e32 vcc, s[4:5], v[4:5]
	v_addc_co_u32_e64 v3, s[2:3], v3, v7, s[2:3]
	s_or_b64 s[20:21], vcc, s[20:21]
	s_waitcnt vmcnt(0)
	v_mul_f32_e32 v8, v8, v8
	v_add_f32_e32 v6, v6, v8
	s_andn2_b64 exec, exec, s[20:21]
	s_cbranch_execnz .LBB13_4
; %bb.5:
	s_or_b64 exec, exec, s[20:21]
.LBB13_6:
	s_or_b64 exec, exec, s[16:17]
	v_mbcnt_lo_u32_b32 v2, -1, 0
	v_mbcnt_hi_u32_b32 v2, -1, v2
	v_and_b32_e32 v3, 63, v2
	v_cmp_ne_u32_e32 vcc, 63, v3
	v_addc_co_u32_e32 v4, vcc, 0, v2, vcc
	v_lshlrev_b32_e32 v4, 2, v4
	ds_bpermute_b32 v4, v4, v6
	v_cmp_gt_u32_e32 vcc, 62, v3
	v_cndmask_b32_e64 v5, 0, 1, vcc
	v_lshlrev_b32_e32 v5, 1, v5
	v_add_lshl_u32 v5, v5, v2, 2
	s_waitcnt lgkmcnt(0)
	v_add_f32_e32 v4, v6, v4
	ds_bpermute_b32 v5, v5, v4
	v_cmp_gt_u32_e32 vcc, 60, v3
	v_cndmask_b32_e64 v6, 0, 1, vcc
	v_cmp_gt_u32_e32 vcc, 56, v3
	s_waitcnt lgkmcnt(0)
	v_add_f32_e32 v4, v4, v5
	v_lshlrev_b32_e32 v5, 2, v6
	v_add_lshl_u32 v5, v5, v2, 2
	ds_bpermute_b32 v5, v5, v4
	v_cndmask_b32_e64 v6, 0, 1, vcc
	v_cmp_gt_u32_e32 vcc, 48, v3
	s_waitcnt lgkmcnt(0)
	v_add_f32_e32 v4, v4, v5
	v_lshlrev_b32_e32 v5, 3, v6
	v_add_lshl_u32 v5, v5, v2, 2
	ds_bpermute_b32 v5, v5, v4
	v_cndmask_b32_e64 v6, 0, 1, vcc
	v_cmp_gt_u32_e32 vcc, 32, v3
	v_cndmask_b32_e64 v3, 0, 1, vcc
	v_lshlrev_b32_e32 v3, 5, v3
	s_waitcnt lgkmcnt(0)
	v_add_f32_e32 v4, v4, v5
	v_lshlrev_b32_e32 v5, 4, v6
	v_add_lshl_u32 v5, v5, v2, 2
	ds_bpermute_b32 v5, v5, v4
	v_add_lshl_u32 v2, v3, v2, 2
	s_waitcnt lgkmcnt(0)
	v_add_f32_e32 v6, v4, v5
	ds_bpermute_b32 v2, v2, v6
	v_mov_b32_e32 v5, 0
	v_and_b32_e32 v4, 63, v0
	v_cmp_eq_u64_e32 vcc, 0, v[4:5]
	s_waitcnt lgkmcnt(0)
	v_add_f32_e32 v2, v6, v2
	s_and_saveexec_b64 s[2:3], vcc
	s_cbranch_execz .LBB13_8
; %bb.7:
	v_lshrrev_b32_e32 v3, 4, v0
	v_and_b32_e32 v3, 28, v3
	ds_write_b32 v3, v2
.LBB13_8:
	s_or_b64 exec, exec, s[2:3]
	v_cmp_eq_u32_e32 vcc, 0, v0
	s_waitcnt lgkmcnt(0)
	s_barrier
	s_and_saveexec_b64 s[2:3], vcc
	s_cbranch_execz .LBB13_10
; %bb.9:
	v_mov_b32_e32 v3, 0
	ds_read2_b32 v[4:5], v3 offset0:1 offset1:2
	ds_read2_b32 v[6:7], v3 offset0:3 offset1:4
	;; [unrolled: 1-line block ×3, first 2 shown]
	ds_read_b32 v10, v3 offset:28
	s_waitcnt lgkmcnt(3)
	v_add_f32_e32 v2, v2, v4
	v_add_f32_e32 v2, v2, v5
	s_waitcnt lgkmcnt(2)
	v_add_f32_e32 v2, v2, v6
	v_add_f32_e32 v2, v2, v7
	;; [unrolled: 3-line block ×3, first 2 shown]
	s_waitcnt lgkmcnt(0)
	v_add_f32_e32 v2, v2, v10
	ds_write_b32 v3, v2
.LBB13_10:
	s_or_b64 exec, exec, s[2:3]
	s_waitcnt lgkmcnt(0)
	s_barrier
	s_and_saveexec_b64 s[16:17], vcc
	s_cbranch_execz .LBB13_20
; %bb.11:
	s_mul_i32 s2, s7, s15
	s_mul_hi_u32 s3, s7, s14
	s_add_i32 s3, s3, s2
	s_mul_i32 s2, s7, s14
	s_lshl_b64 s[2:3], s[2:3], 2
	s_add_u32 s6, s10, s2
	s_addc_u32 s9, s11, s3
	s_lshl_b64 s[2:3], s[12:13], 2
	s_add_u32 s10, s6, s2
	s_addc_u32 s11, s9, s3
	s_mul_i32 s2, s7, s19
	s_mul_hi_u32 s3, s7, s18
	v_mov_b32_e32 v2, 0
	s_add_i32 s3, s3, s2
	s_mul_i32 s2, s7, s18
	ds_read_b32 v3, v2
	s_lshl_b64 s[2:3], s[2:3], 2
	s_add_u32 s6, s30, s2
	s_addc_u32 s7, s31, s3
	s_cmp_eq_u64 s[34:35], 0
	s_cselect_b64 s[2:3], -1, 0
	s_cmp_lg_u64 s[34:35], 0
	s_waitcnt lgkmcnt(0)
	v_cmp_nlt_f32_e32 vcc, 0, v3
	s_mov_b64 s[14:15], 0
	s_cselect_b64 s[12:13], -1, 0
	s_cbranch_vccz .LBB13_14
; %bb.12:
	v_mov_b32_e32 v4, 1.0
	s_mov_b64 s[20:21], 0
	s_and_b64 vcc, exec, s[12:13]
	ds_write_b32 v2, v4
	global_store_dword v2, v2, s[6:7]
	s_cbranch_vccz .LBB13_15
; %bb.13:
	v_mov_b32_e32 v2, 0
	global_load_dword v2, v2, s[10:11]
	s_mov_b64 s[18:19], -1
	s_and_b64 vcc, exec, s[20:21]
	s_cbranch_vccnz .LBB13_16
	s_branch .LBB13_17
.LBB13_14:
	s_mov_b64 s[20:21], -1
.LBB13_15:
	s_mov_b64 s[18:19], 0
                                        ; implicit-def: $vgpr2
	s_and_b64 vcc, exec, s[20:21]
	s_cbranch_vccz .LBB13_17
.LBB13_16:
	v_mov_b32_e32 v4, 0
	global_load_dword v5, v4, s[10:11]
	s_mov_b32 s9, 0xf800000
	s_mov_b64 s[14:15], s[2:3]
	v_mov_b32_e32 v6, 0x260
	s_mov_b64 s[18:19], s[12:13]
	s_waitcnt vmcnt(0)
	v_fmac_f32_e32 v3, v5, v5
	v_mul_f32_e32 v2, 0x4f800000, v3
	v_cmp_gt_f32_e32 vcc, s9, v3
	v_cndmask_b32_e32 v2, v3, v2, vcc
	v_sqrt_f32_e32 v3, v2
	v_add_u32_e32 v7, -1, v3
	v_add_u32_e32 v8, 1, v3
	v_fma_f32 v9, -v7, v3, v2
	v_fma_f32 v10, -v8, v3, v2
	v_cmp_ge_f32_e64 s[2:3], 0, v9
	v_cndmask_b32_e64 v3, v3, v7, s[2:3]
	v_cmp_lt_f32_e64 s[2:3], 0, v10
	v_cndmask_b32_e64 v3, v3, v8, s[2:3]
	v_mul_f32_e32 v7, 0x37800000, v3
	v_cndmask_b32_e32 v3, v3, v7, vcc
	v_cmp_class_f32_e32 vcc, v2, v6
	v_cndmask_b32_e32 v2, v3, v2, vcc
	v_cmp_le_f32_e32 vcc, 0, v5
	v_cndmask_b32_e64 v2, v2, -v2, vcc
	v_sub_f32_e32 v3, v5, v2
	v_sub_f32_e32 v5, v2, v5
	v_div_scale_f32 v6, s[2:3], v3, v3, 1.0
	v_div_scale_f32 v8, s[2:3], v2, v2, v5
	v_rcp_f32_e32 v9, v6
	v_rcp_f32_e32 v10, v8
	v_div_scale_f32 v7, vcc, 1.0, v3, 1.0
	v_fma_f32 v12, -v6, v9, 1.0
	v_fma_f32 v13, -v8, v10, 1.0
	v_fmac_f32_e32 v9, v12, v9
	v_div_scale_f32 v11, s[2:3], v5, v2, v5
	v_fmac_f32_e32 v10, v13, v10
	v_mul_f32_e32 v12, v7, v9
	v_mul_f32_e32 v13, v11, v10
	v_fma_f32 v14, -v6, v12, v7
	v_fma_f32 v15, -v8, v13, v11
	v_fmac_f32_e32 v12, v14, v9
	v_fmac_f32_e32 v13, v15, v10
	v_fma_f32 v6, -v6, v12, v7
	v_fma_f32 v7, -v8, v13, v11
	v_div_fmas_f32 v6, v6, v9, v12
	s_mov_b64 vcc, s[2:3]
	v_div_fixup_f32 v3, v6, v3, 1.0
	v_div_fmas_f32 v6, v7, v10, v13
	ds_write_b32 v4, v3
	v_div_fixup_f32 v3, v6, v2, v5
	global_store_dword v4, v3, s[6:7]
.LBB13_17:
	s_andn2_b64 vcc, exec, s[18:19]
	s_cbranch_vccz .LBB13_24
; %bb.18:
	s_andn2_b64 vcc, exec, s[14:15]
	s_cbranch_vccnz .LBB13_20
.LBB13_19:
	v_mov_b32_e32 v3, 0
	s_waitcnt vmcnt(0)
	global_store_dword v3, v2, s[10:11]
.LBB13_20:
	s_or_b64 exec, exec, s[16:17]
	s_waitcnt lgkmcnt(0)
	s_barrier
	s_and_saveexec_b64 s[2:3], s[0:1]
	s_cbranch_execz .LBB13_23
; %bb.21:
	s_waitcnt vmcnt(0)
	v_mov_b32_e32 v2, 0
	ds_read_b32 v4, v2
	v_mad_u64_u32 v[2:3], s[2:3], s26, v0, 0
	v_mov_b32_e32 v6, v3
	s_add_i32 s9, s36, s33
	v_mad_u64_u32 v[6:7], s[2:3], s27, v0, v[6:7]
	s_lshl_b64 s[0:1], s[8:9], 2
	s_lshl_b64 s[2:3], s[24:25], 2
	s_add_u32 s2, s22, s2
	s_addc_u32 s3, s23, s3
	v_mov_b32_e32 v3, v6
	s_add_u32 s0, s2, s0
	v_lshlrev_b64 v[2:3], 2, v[2:3]
	s_addc_u32 s1, s3, s1
	v_mov_b32_e32 v5, s1
	v_add_co_u32_e32 v2, vcc, s0, v2
	s_lshl_b64 s[0:1], s[26:27], 11
	v_addc_co_u32_e32 v3, vcc, v5, v3, vcc
	s_mov_b64 s[2:3], 0
	v_mov_b32_e32 v5, s1
.LBB13_22:                              ; =>This Inner Loop Header: Depth=1
	global_load_dword v6, v[2:3], off
	v_add_co_u32_e32 v0, vcc, 0x200, v0
	v_addc_co_u32_e32 v1, vcc, 0, v1, vcc
	v_cmp_le_i64_e32 vcc, s[4:5], v[0:1]
	s_or_b64 s[2:3], vcc, s[2:3]
	s_waitcnt vmcnt(0) lgkmcnt(0)
	v_mul_f32_e32 v6, v4, v6
	global_store_dword v[2:3], v6, off
	v_add_co_u32_e32 v2, vcc, s0, v2
	v_addc_co_u32_e32 v3, vcc, v3, v5, vcc
	s_andn2_b64 exec, exec, s[2:3]
	s_cbranch_execnz .LBB13_22
.LBB13_23:
	s_endpgm
.LBB13_24:
	v_pk_mov_b32 v[4:5], s[34:35], s[34:35] op_sel:[0,1]
	s_waitcnt vmcnt(0)
	flat_store_dword v[4:5], v2
	v_mov_b32_e32 v2, 1.0
	s_branch .LBB13_19
	.section	.rodata,"a",@progbits
	.p2align	6, 0x0
	.amdhsa_kernel _ZN9rocsolver6v33100L18larfg_kernel_smallILi512EflfPfEEvT1_T3_llPT2_llS4_lS3_lPT0_l
		.amdhsa_group_segment_fixed_size 32
		.amdhsa_private_segment_fixed_size 0
		.amdhsa_kernarg_size 104
		.amdhsa_user_sgpr_count 6
		.amdhsa_user_sgpr_private_segment_buffer 1
		.amdhsa_user_sgpr_dispatch_ptr 0
		.amdhsa_user_sgpr_queue_ptr 0
		.amdhsa_user_sgpr_kernarg_segment_ptr 1
		.amdhsa_user_sgpr_dispatch_id 0
		.amdhsa_user_sgpr_flat_scratch_init 0
		.amdhsa_user_sgpr_kernarg_preload_length 0
		.amdhsa_user_sgpr_kernarg_preload_offset 0
		.amdhsa_user_sgpr_private_segment_size 0
		.amdhsa_uses_dynamic_stack 0
		.amdhsa_system_sgpr_private_segment_wavefront_offset 0
		.amdhsa_system_sgpr_workgroup_id_x 1
		.amdhsa_system_sgpr_workgroup_id_y 0
		.amdhsa_system_sgpr_workgroup_id_z 1
		.amdhsa_system_sgpr_workgroup_info 0
		.amdhsa_system_vgpr_workitem_id 0
		.amdhsa_next_free_vgpr 16
		.amdhsa_next_free_sgpr 37
		.amdhsa_accum_offset 16
		.amdhsa_reserve_vcc 1
		.amdhsa_reserve_flat_scratch 0
		.amdhsa_float_round_mode_32 0
		.amdhsa_float_round_mode_16_64 0
		.amdhsa_float_denorm_mode_32 3
		.amdhsa_float_denorm_mode_16_64 3
		.amdhsa_dx10_clamp 1
		.amdhsa_ieee_mode 1
		.amdhsa_fp16_overflow 0
		.amdhsa_tg_split 0
		.amdhsa_exception_fp_ieee_invalid_op 0
		.amdhsa_exception_fp_denorm_src 0
		.amdhsa_exception_fp_ieee_div_zero 0
		.amdhsa_exception_fp_ieee_overflow 0
		.amdhsa_exception_fp_ieee_underflow 0
		.amdhsa_exception_fp_ieee_inexact 0
		.amdhsa_exception_int_div_zero 0
	.end_amdhsa_kernel
	.section	.text._ZN9rocsolver6v33100L18larfg_kernel_smallILi512EflfPfEEvT1_T3_llPT2_llS4_lS3_lPT0_l,"axG",@progbits,_ZN9rocsolver6v33100L18larfg_kernel_smallILi512EflfPfEEvT1_T3_llPT2_llS4_lS3_lPT0_l,comdat
.Lfunc_end13:
	.size	_ZN9rocsolver6v33100L18larfg_kernel_smallILi512EflfPfEEvT1_T3_llPT2_llS4_lS3_lPT0_l, .Lfunc_end13-_ZN9rocsolver6v33100L18larfg_kernel_smallILi512EflfPfEEvT1_T3_llPT2_llS4_lS3_lPT0_l
                                        ; -- End function
	.section	.AMDGPU.csdata,"",@progbits
; Kernel info:
; codeLenInByte = 1468
; NumSgprs: 41
; NumVgprs: 16
; NumAgprs: 0
; TotalNumVgprs: 16
; ScratchSize: 0
; MemoryBound: 0
; FloatMode: 240
; IeeeMode: 1
; LDSByteSize: 32 bytes/workgroup (compile time only)
; SGPRBlocks: 5
; VGPRBlocks: 1
; NumSGPRsForWavesPerEU: 41
; NumVGPRsForWavesPerEU: 16
; AccumOffset: 16
; Occupancy: 8
; WaveLimiterHint : 0
; COMPUTE_PGM_RSRC2:SCRATCH_EN: 0
; COMPUTE_PGM_RSRC2:USER_SGPR: 6
; COMPUTE_PGM_RSRC2:TRAP_HANDLER: 0
; COMPUTE_PGM_RSRC2:TGID_X_EN: 1
; COMPUTE_PGM_RSRC2:TGID_Y_EN: 0
; COMPUTE_PGM_RSRC2:TGID_Z_EN: 1
; COMPUTE_PGM_RSRC2:TIDIG_COMP_CNT: 0
; COMPUTE_PGM_RSRC3_GFX90A:ACCUM_OFFSET: 3
; COMPUTE_PGM_RSRC3_GFX90A:TG_SPLIT: 0
	.section	.text._ZN9rocsolver6v33100L18larfg_kernel_smallILi1024EflfPfEEvT1_T3_llPT2_llS4_lS3_lPT0_l,"axG",@progbits,_ZN9rocsolver6v33100L18larfg_kernel_smallILi1024EflfPfEEvT1_T3_llPT2_llS4_lS3_lPT0_l,comdat
	.globl	_ZN9rocsolver6v33100L18larfg_kernel_smallILi1024EflfPfEEvT1_T3_llPT2_llS4_lS3_lPT0_l ; -- Begin function _ZN9rocsolver6v33100L18larfg_kernel_smallILi1024EflfPfEEvT1_T3_llPT2_llS4_lS3_lPT0_l
	.p2align	8
	.type	_ZN9rocsolver6v33100L18larfg_kernel_smallILi1024EflfPfEEvT1_T3_llPT2_llS4_lS3_lPT0_l,@function
_ZN9rocsolver6v33100L18larfg_kernel_smallILi1024EflfPfEEvT1_T3_llPT2_llS4_lS3_lPT0_l: ; @_ZN9rocsolver6v33100L18larfg_kernel_smallILi1024EflfPfEEvT1_T3_llPT2_llS4_lS3_lPT0_l
; %bb.0:
	s_load_dwordx16 s[8:23], s[4:5], 0x0
	s_mov_b64 s[34:35], 0
	s_waitcnt lgkmcnt(0)
	s_cmp_eq_u64 s[16:17], 0
	s_cbranch_scc1 .LBB14_2
; %bb.1:
	s_mul_i32 s0, s7, s21
	s_mul_hi_u32 s1, s7, s20
	s_add_i32 s1, s1, s0
	s_mul_i32 s0, s7, s20
	s_lshl_b64 s[0:1], s[0:1], 2
	s_add_u32 s2, s16, s0
	s_addc_u32 s3, s17, s1
	s_lshl_b64 s[0:1], s[18:19], 2
	s_add_u32 s34, s2, s0
	s_addc_u32 s35, s3, s1
.LBB14_2:
	s_load_dwordx8 s[24:31], s[4:5], 0x40
	s_load_dwordx2 s[16:17], s[4:5], 0x60
	s_add_u32 s4, s8, -1
	v_mov_b32_e32 v1, 0
	s_addc_u32 s5, s9, -1
	v_cmp_gt_i64_e64 s[0:1], s[4:5], v[0:1]
	s_waitcnt lgkmcnt(0)
	s_mul_i32 s33, s29, s7
	s_mul_hi_u32 s36, s28, s7
	s_mul_i32 s8, s28, s7
	v_mov_b32_e32 v6, v1
	s_and_saveexec_b64 s[18:19], s[0:1]
	s_cbranch_execz .LBB14_6
; %bb.3:
	v_mad_u64_u32 v[2:3], s[20:21], s26, v0, 0
	v_mov_b32_e32 v4, v3
	s_add_i32 s9, s36, s33
	v_mad_u64_u32 v[4:5], s[20:21], s27, v0, v[4:5]
	s_lshl_b64 s[2:3], s[8:9], 2
	s_lshl_b64 s[20:21], s[24:25], 2
	s_add_u32 s6, s22, s20
	s_addc_u32 s9, s23, s21
	v_mov_b32_e32 v3, v4
	s_add_u32 s2, s6, s2
	v_lshlrev_b64 v[2:3], 2, v[2:3]
	s_addc_u32 s3, s9, s3
	v_mov_b32_e32 v4, s3
	v_add_co_u32_e32 v2, vcc, s2, v2
	s_lshl_b64 s[28:29], s[26:27], 12
	v_addc_co_u32_e32 v3, vcc, v4, v3, vcc
	s_mov_b64 s[20:21], 0
	v_mov_b32_e32 v6, 0
	v_mov_b32_e32 v7, s29
	v_pk_mov_b32 v[4:5], v[0:1], v[0:1] op_sel:[0,1]
.LBB14_4:                               ; =>This Inner Loop Header: Depth=1
	global_load_dword v8, v[2:3], off
	v_add_co_u32_e32 v4, vcc, 0x400, v4
	v_addc_co_u32_e32 v5, vcc, 0, v5, vcc
	v_add_co_u32_e64 v2, s[2:3], s28, v2
	v_cmp_le_i64_e32 vcc, s[4:5], v[4:5]
	v_addc_co_u32_e64 v3, s[2:3], v3, v7, s[2:3]
	s_or_b64 s[20:21], vcc, s[20:21]
	s_waitcnt vmcnt(0)
	v_mul_f32_e32 v8, v8, v8
	v_add_f32_e32 v6, v6, v8
	s_andn2_b64 exec, exec, s[20:21]
	s_cbranch_execnz .LBB14_4
; %bb.5:
	s_or_b64 exec, exec, s[20:21]
.LBB14_6:
	s_or_b64 exec, exec, s[18:19]
	v_mbcnt_lo_u32_b32 v2, -1, 0
	v_mbcnt_hi_u32_b32 v2, -1, v2
	v_and_b32_e32 v3, 63, v2
	v_cmp_ne_u32_e32 vcc, 63, v3
	v_addc_co_u32_e32 v4, vcc, 0, v2, vcc
	v_lshlrev_b32_e32 v4, 2, v4
	ds_bpermute_b32 v4, v4, v6
	v_cmp_gt_u32_e32 vcc, 62, v3
	v_cndmask_b32_e64 v5, 0, 1, vcc
	v_lshlrev_b32_e32 v5, 1, v5
	v_add_lshl_u32 v5, v5, v2, 2
	s_waitcnt lgkmcnt(0)
	v_add_f32_e32 v4, v6, v4
	ds_bpermute_b32 v5, v5, v4
	v_cmp_gt_u32_e32 vcc, 60, v3
	v_cndmask_b32_e64 v6, 0, 1, vcc
	v_cmp_gt_u32_e32 vcc, 56, v3
	s_waitcnt lgkmcnt(0)
	v_add_f32_e32 v4, v4, v5
	v_lshlrev_b32_e32 v5, 2, v6
	v_add_lshl_u32 v5, v5, v2, 2
	ds_bpermute_b32 v5, v5, v4
	v_cndmask_b32_e64 v6, 0, 1, vcc
	v_cmp_gt_u32_e32 vcc, 48, v3
	s_waitcnt lgkmcnt(0)
	v_add_f32_e32 v4, v4, v5
	v_lshlrev_b32_e32 v5, 3, v6
	v_add_lshl_u32 v5, v5, v2, 2
	ds_bpermute_b32 v5, v5, v4
	v_cndmask_b32_e64 v6, 0, 1, vcc
	v_cmp_gt_u32_e32 vcc, 32, v3
	v_cndmask_b32_e64 v3, 0, 1, vcc
	v_lshlrev_b32_e32 v3, 5, v3
	s_waitcnt lgkmcnt(0)
	v_add_f32_e32 v4, v4, v5
	v_lshlrev_b32_e32 v5, 4, v6
	v_add_lshl_u32 v5, v5, v2, 2
	ds_bpermute_b32 v5, v5, v4
	v_add_lshl_u32 v2, v3, v2, 2
	s_waitcnt lgkmcnt(0)
	v_add_f32_e32 v6, v4, v5
	ds_bpermute_b32 v2, v2, v6
	v_mov_b32_e32 v5, 0
	v_and_b32_e32 v4, 63, v0
	v_cmp_eq_u64_e32 vcc, 0, v[4:5]
	s_waitcnt lgkmcnt(0)
	v_add_f32_e32 v2, v6, v2
	s_and_saveexec_b64 s[2:3], vcc
	s_cbranch_execz .LBB14_8
; %bb.7:
	v_lshrrev_b32_e32 v3, 4, v0
	v_and_b32_e32 v3, 60, v3
	ds_write_b32 v3, v2
.LBB14_8:
	s_or_b64 exec, exec, s[2:3]
	v_cmp_eq_u32_e32 vcc, 0, v0
	s_waitcnt lgkmcnt(0)
	s_barrier
	s_and_saveexec_b64 s[2:3], vcc
	s_cbranch_execz .LBB14_10
; %bb.9:
	v_mov_b32_e32 v12, 0
	ds_read2_b32 v[4:5], v12 offset0:1 offset1:2
	ds_read2_b32 v[6:7], v12 offset0:3 offset1:4
	;; [unrolled: 1-line block ×4, first 2 shown]
	s_waitcnt lgkmcnt(3)
	v_add_f32_e32 v2, v2, v4
	v_add_f32_e32 v2, v2, v5
	s_waitcnt lgkmcnt(2)
	v_add_f32_e32 v2, v2, v6
	v_add_f32_e32 v2, v2, v7
	;; [unrolled: 3-line block ×3, first 2 shown]
	s_waitcnt lgkmcnt(0)
	v_add_f32_e32 v4, v2, v10
	ds_read2_b32 v[2:3], v12 offset0:9 offset1:10
	v_add_f32_e32 v8, v4, v11
	ds_read2_b32 v[4:5], v12 offset0:11 offset1:12
	ds_read2_b32 v[6:7], v12 offset0:13 offset1:14
	ds_read_b32 v9, v12 offset:60
	s_waitcnt lgkmcnt(3)
	v_add_f32_e32 v2, v8, v2
	v_add_f32_e32 v2, v2, v3
	s_waitcnt lgkmcnt(2)
	v_add_f32_e32 v2, v2, v4
	v_add_f32_e32 v2, v2, v5
	;; [unrolled: 3-line block ×3, first 2 shown]
	s_waitcnt lgkmcnt(0)
	v_add_f32_e32 v2, v2, v9
	ds_write_b32 v12, v2
.LBB14_10:
	s_or_b64 exec, exec, s[2:3]
	s_waitcnt lgkmcnt(0)
	s_barrier
	s_and_saveexec_b64 s[18:19], vcc
	s_cbranch_execz .LBB14_20
; %bb.11:
	s_mul_i32 s2, s7, s15
	s_mul_hi_u32 s3, s7, s14
	s_add_i32 s3, s3, s2
	s_mul_i32 s2, s7, s14
	s_lshl_b64 s[2:3], s[2:3], 2
	s_add_u32 s6, s10, s2
	s_addc_u32 s9, s11, s3
	s_lshl_b64 s[2:3], s[12:13], 2
	s_add_u32 s10, s6, s2
	s_addc_u32 s11, s9, s3
	s_mul_i32 s2, s7, s17
	s_mul_hi_u32 s3, s7, s16
	v_mov_b32_e32 v2, 0
	s_add_i32 s3, s3, s2
	s_mul_i32 s2, s7, s16
	ds_read_b32 v3, v2
	s_lshl_b64 s[2:3], s[2:3], 2
	s_add_u32 s6, s30, s2
	s_addc_u32 s7, s31, s3
	s_cmp_eq_u64 s[34:35], 0
	s_cselect_b64 s[2:3], -1, 0
	s_cmp_lg_u64 s[34:35], 0
	s_waitcnt lgkmcnt(0)
	v_cmp_nlt_f32_e32 vcc, 0, v3
	s_mov_b64 s[14:15], 0
	s_cselect_b64 s[12:13], -1, 0
	s_cbranch_vccz .LBB14_14
; %bb.12:
	v_mov_b32_e32 v4, 1.0
	s_mov_b64 s[20:21], 0
	s_and_b64 vcc, exec, s[12:13]
	ds_write_b32 v2, v4
	global_store_dword v2, v2, s[6:7]
	s_cbranch_vccz .LBB14_15
; %bb.13:
	v_mov_b32_e32 v2, 0
	global_load_dword v2, v2, s[10:11]
	s_mov_b64 s[16:17], -1
	s_and_b64 vcc, exec, s[20:21]
	s_cbranch_vccnz .LBB14_16
	s_branch .LBB14_17
.LBB14_14:
	s_mov_b64 s[20:21], -1
.LBB14_15:
	s_mov_b64 s[16:17], 0
                                        ; implicit-def: $vgpr2
	s_and_b64 vcc, exec, s[20:21]
	s_cbranch_vccz .LBB14_17
.LBB14_16:
	v_mov_b32_e32 v4, 0
	global_load_dword v5, v4, s[10:11]
	s_mov_b32 s9, 0xf800000
	s_mov_b64 s[14:15], s[2:3]
	v_mov_b32_e32 v6, 0x260
	s_mov_b64 s[16:17], s[12:13]
	s_waitcnt vmcnt(0)
	v_fmac_f32_e32 v3, v5, v5
	v_mul_f32_e32 v2, 0x4f800000, v3
	v_cmp_gt_f32_e32 vcc, s9, v3
	v_cndmask_b32_e32 v2, v3, v2, vcc
	v_sqrt_f32_e32 v3, v2
	v_add_u32_e32 v7, -1, v3
	v_add_u32_e32 v8, 1, v3
	v_fma_f32 v9, -v7, v3, v2
	v_fma_f32 v10, -v8, v3, v2
	v_cmp_ge_f32_e64 s[2:3], 0, v9
	v_cndmask_b32_e64 v3, v3, v7, s[2:3]
	v_cmp_lt_f32_e64 s[2:3], 0, v10
	v_cndmask_b32_e64 v3, v3, v8, s[2:3]
	v_mul_f32_e32 v7, 0x37800000, v3
	v_cndmask_b32_e32 v3, v3, v7, vcc
	v_cmp_class_f32_e32 vcc, v2, v6
	v_cndmask_b32_e32 v2, v3, v2, vcc
	v_cmp_le_f32_e32 vcc, 0, v5
	v_cndmask_b32_e64 v2, v2, -v2, vcc
	v_sub_f32_e32 v3, v5, v2
	v_sub_f32_e32 v5, v2, v5
	v_div_scale_f32 v6, s[2:3], v3, v3, 1.0
	v_div_scale_f32 v8, s[2:3], v2, v2, v5
	v_rcp_f32_e32 v9, v6
	v_rcp_f32_e32 v10, v8
	v_div_scale_f32 v7, vcc, 1.0, v3, 1.0
	v_fma_f32 v12, -v6, v9, 1.0
	v_fma_f32 v13, -v8, v10, 1.0
	v_fmac_f32_e32 v9, v12, v9
	v_div_scale_f32 v11, s[2:3], v5, v2, v5
	v_fmac_f32_e32 v10, v13, v10
	v_mul_f32_e32 v12, v7, v9
	v_mul_f32_e32 v13, v11, v10
	v_fma_f32 v14, -v6, v12, v7
	v_fma_f32 v15, -v8, v13, v11
	v_fmac_f32_e32 v12, v14, v9
	v_fmac_f32_e32 v13, v15, v10
	v_fma_f32 v6, -v6, v12, v7
	v_fma_f32 v7, -v8, v13, v11
	v_div_fmas_f32 v6, v6, v9, v12
	s_mov_b64 vcc, s[2:3]
	v_div_fixup_f32 v3, v6, v3, 1.0
	v_div_fmas_f32 v6, v7, v10, v13
	ds_write_b32 v4, v3
	v_div_fixup_f32 v3, v6, v2, v5
	global_store_dword v4, v3, s[6:7]
.LBB14_17:
	s_andn2_b64 vcc, exec, s[16:17]
	s_cbranch_vccz .LBB14_24
; %bb.18:
	s_andn2_b64 vcc, exec, s[14:15]
	s_cbranch_vccnz .LBB14_20
.LBB14_19:
	v_mov_b32_e32 v3, 0
	s_waitcnt vmcnt(0)
	global_store_dword v3, v2, s[10:11]
.LBB14_20:
	s_or_b64 exec, exec, s[18:19]
	s_waitcnt lgkmcnt(0)
	s_barrier
	s_and_saveexec_b64 s[2:3], s[0:1]
	s_cbranch_execz .LBB14_23
; %bb.21:
	s_waitcnt vmcnt(0)
	v_mov_b32_e32 v2, 0
	ds_read_b32 v4, v2
	v_mad_u64_u32 v[2:3], s[2:3], s26, v0, 0
	v_mov_b32_e32 v6, v3
	s_add_i32 s9, s36, s33
	v_mad_u64_u32 v[6:7], s[2:3], s27, v0, v[6:7]
	s_lshl_b64 s[0:1], s[8:9], 2
	s_lshl_b64 s[2:3], s[24:25], 2
	s_add_u32 s2, s22, s2
	s_addc_u32 s3, s23, s3
	v_mov_b32_e32 v3, v6
	s_add_u32 s0, s2, s0
	v_lshlrev_b64 v[2:3], 2, v[2:3]
	s_addc_u32 s1, s3, s1
	v_mov_b32_e32 v5, s1
	v_add_co_u32_e32 v2, vcc, s0, v2
	s_lshl_b64 s[0:1], s[26:27], 12
	v_addc_co_u32_e32 v3, vcc, v5, v3, vcc
	s_mov_b64 s[2:3], 0
	v_mov_b32_e32 v5, s1
.LBB14_22:                              ; =>This Inner Loop Header: Depth=1
	global_load_dword v6, v[2:3], off
	v_add_co_u32_e32 v0, vcc, 0x400, v0
	v_addc_co_u32_e32 v1, vcc, 0, v1, vcc
	v_cmp_le_i64_e32 vcc, s[4:5], v[0:1]
	s_or_b64 s[2:3], vcc, s[2:3]
	s_waitcnt vmcnt(0) lgkmcnt(0)
	v_mul_f32_e32 v6, v4, v6
	global_store_dword v[2:3], v6, off
	v_add_co_u32_e32 v2, vcc, s0, v2
	v_addc_co_u32_e32 v3, vcc, v3, v5, vcc
	s_andn2_b64 exec, exec, s[2:3]
	s_cbranch_execnz .LBB14_22
.LBB14_23:
	s_endpgm
.LBB14_24:
	v_pk_mov_b32 v[4:5], s[34:35], s[34:35] op_sel:[0,1]
	s_waitcnt vmcnt(0)
	flat_store_dword v[4:5], v2
	v_mov_b32_e32 v2, 1.0
	s_branch .LBB14_19
	.section	.rodata,"a",@progbits
	.p2align	6, 0x0
	.amdhsa_kernel _ZN9rocsolver6v33100L18larfg_kernel_smallILi1024EflfPfEEvT1_T3_llPT2_llS4_lS3_lPT0_l
		.amdhsa_group_segment_fixed_size 64
		.amdhsa_private_segment_fixed_size 0
		.amdhsa_kernarg_size 104
		.amdhsa_user_sgpr_count 6
		.amdhsa_user_sgpr_private_segment_buffer 1
		.amdhsa_user_sgpr_dispatch_ptr 0
		.amdhsa_user_sgpr_queue_ptr 0
		.amdhsa_user_sgpr_kernarg_segment_ptr 1
		.amdhsa_user_sgpr_dispatch_id 0
		.amdhsa_user_sgpr_flat_scratch_init 0
		.amdhsa_user_sgpr_kernarg_preload_length 0
		.amdhsa_user_sgpr_kernarg_preload_offset 0
		.amdhsa_user_sgpr_private_segment_size 0
		.amdhsa_uses_dynamic_stack 0
		.amdhsa_system_sgpr_private_segment_wavefront_offset 0
		.amdhsa_system_sgpr_workgroup_id_x 1
		.amdhsa_system_sgpr_workgroup_id_y 0
		.amdhsa_system_sgpr_workgroup_id_z 1
		.amdhsa_system_sgpr_workgroup_info 0
		.amdhsa_system_vgpr_workitem_id 0
		.amdhsa_next_free_vgpr 16
		.amdhsa_next_free_sgpr 37
		.amdhsa_accum_offset 16
		.amdhsa_reserve_vcc 1
		.amdhsa_reserve_flat_scratch 0
		.amdhsa_float_round_mode_32 0
		.amdhsa_float_round_mode_16_64 0
		.amdhsa_float_denorm_mode_32 3
		.amdhsa_float_denorm_mode_16_64 3
		.amdhsa_dx10_clamp 1
		.amdhsa_ieee_mode 1
		.amdhsa_fp16_overflow 0
		.amdhsa_tg_split 0
		.amdhsa_exception_fp_ieee_invalid_op 0
		.amdhsa_exception_fp_denorm_src 0
		.amdhsa_exception_fp_ieee_div_zero 0
		.amdhsa_exception_fp_ieee_overflow 0
		.amdhsa_exception_fp_ieee_underflow 0
		.amdhsa_exception_fp_ieee_inexact 0
		.amdhsa_exception_int_div_zero 0
	.end_amdhsa_kernel
	.section	.text._ZN9rocsolver6v33100L18larfg_kernel_smallILi1024EflfPfEEvT1_T3_llPT2_llS4_lS3_lPT0_l,"axG",@progbits,_ZN9rocsolver6v33100L18larfg_kernel_smallILi1024EflfPfEEvT1_T3_llPT2_llS4_lS3_lPT0_l,comdat
.Lfunc_end14:
	.size	_ZN9rocsolver6v33100L18larfg_kernel_smallILi1024EflfPfEEvT1_T3_llPT2_llS4_lS3_lPT0_l, .Lfunc_end14-_ZN9rocsolver6v33100L18larfg_kernel_smallILi1024EflfPfEEvT1_T3_llPT2_llS4_lS3_lPT0_l
                                        ; -- End function
	.section	.AMDGPU.csdata,"",@progbits
; Kernel info:
; codeLenInByte = 1548
; NumSgprs: 41
; NumVgprs: 16
; NumAgprs: 0
; TotalNumVgprs: 16
; ScratchSize: 0
; MemoryBound: 0
; FloatMode: 240
; IeeeMode: 1
; LDSByteSize: 64 bytes/workgroup (compile time only)
; SGPRBlocks: 5
; VGPRBlocks: 1
; NumSGPRsForWavesPerEU: 41
; NumVGPRsForWavesPerEU: 16
; AccumOffset: 16
; Occupancy: 8
; WaveLimiterHint : 0
; COMPUTE_PGM_RSRC2:SCRATCH_EN: 0
; COMPUTE_PGM_RSRC2:USER_SGPR: 6
; COMPUTE_PGM_RSRC2:TRAP_HANDLER: 0
; COMPUTE_PGM_RSRC2:TGID_X_EN: 1
; COMPUTE_PGM_RSRC2:TGID_Y_EN: 0
; COMPUTE_PGM_RSRC2:TGID_Z_EN: 1
; COMPUTE_PGM_RSRC2:TIDIG_COMP_CNT: 0
; COMPUTE_PGM_RSRC3_GFX90A:ACCUM_OFFSET: 3
; COMPUTE_PGM_RSRC3_GFX90A:TG_SPLIT: 0
	.section	.text._ZN9rocsolver6v33100L18larfg_kernel_smallILi64EflfPKPfEEvT1_T3_llPT2_llS6_lS5_lPT0_l,"axG",@progbits,_ZN9rocsolver6v33100L18larfg_kernel_smallILi64EflfPKPfEEvT1_T3_llPT2_llS6_lS5_lPT0_l,comdat
	.globl	_ZN9rocsolver6v33100L18larfg_kernel_smallILi64EflfPKPfEEvT1_T3_llPT2_llS6_lS5_lPT0_l ; -- Begin function _ZN9rocsolver6v33100L18larfg_kernel_smallILi64EflfPKPfEEvT1_T3_llPT2_llS6_lS5_lPT0_l
	.p2align	8
	.type	_ZN9rocsolver6v33100L18larfg_kernel_smallILi64EflfPKPfEEvT1_T3_llPT2_llS6_lS5_lPT0_l,@function
_ZN9rocsolver6v33100L18larfg_kernel_smallILi64EflfPKPfEEvT1_T3_llPT2_llS6_lS5_lPT0_l: ; @_ZN9rocsolver6v33100L18larfg_kernel_smallILi64EflfPKPfEEvT1_T3_llPT2_llS6_lS5_lPT0_l
; %bb.0:
	s_mov_b32 s20, s7
	s_load_dwordx4 s[0:3], s[4:5], 0x0
	s_load_dwordx2 s[22:23], s[4:5], 0x10
	s_load_dwordx8 s[8:15], s[4:5], 0x20
	s_load_dwordx4 s[16:19], s[4:5], 0x40
	s_mov_b32 s21, 0
	s_lshl_b64 s[6:7], s[20:21], 3
	s_waitcnt lgkmcnt(0)
	s_add_u32 s2, s2, s6
	s_addc_u32 s3, s3, s7
	s_add_u32 s6, s14, s6
	s_addc_u32 s7, s15, s7
	s_load_dwordx2 s[6:7], s[6:7], 0x0
	s_cmp_eq_u64 s[8:9], 0
	s_mov_b64 s[14:15], 0
	s_cbranch_scc1 .LBB15_2
; %bb.1:
	s_mul_i32 s13, s20, s13
	s_mul_hi_u32 s14, s20, s12
	s_add_i32 s13, s14, s13
	s_mul_i32 s12, s20, s12
	s_lshl_b64 s[12:13], s[12:13], 2
	s_add_u32 s12, s8, s12
	s_addc_u32 s13, s9, s13
	s_lshl_b64 s[8:9], s[10:11], 2
	s_add_u32 s14, s12, s8
	s_addc_u32 s15, s13, s9
.LBB15_2:
	s_load_dwordx2 s[2:3], s[2:3], 0x0
	s_add_u32 s8, s0, -1
	v_mov_b32_e32 v1, 0
	s_addc_u32 s9, s1, -1
	v_cmp_gt_i64_e64 s[0:1], s[8:9], v[0:1]
	v_mov_b32_e32 v6, v1
	s_and_saveexec_b64 s[10:11], s[0:1]
	s_cbranch_execz .LBB15_6
; %bb.3:
	v_mad_u64_u32 v[2:3], s[12:13], s18, v0, 0
	v_mov_b32_e32 v4, v3
	v_mad_u64_u32 v[4:5], s[12:13], s19, v0, v[4:5]
	s_lshl_b64 s[12:13], s[16:17], 2
	v_mov_b32_e32 v3, v4
	s_waitcnt lgkmcnt(0)
	s_add_u32 s12, s6, s12
	v_lshlrev_b64 v[2:3], 2, v[2:3]
	s_addc_u32 s13, s7, s13
	v_mov_b32_e32 v4, s13
	v_add_co_u32_e32 v2, vcc, s12, v2
	s_lshl_b64 s[24:25], s[18:19], 8
	v_addc_co_u32_e32 v3, vcc, v4, v3, vcc
	s_mov_b64 s[12:13], 0
	v_mov_b32_e32 v6, 0
	v_mov_b32_e32 v7, s25
	v_pk_mov_b32 v[4:5], v[0:1], v[0:1] op_sel:[0,1]
.LBB15_4:                               ; =>This Inner Loop Header: Depth=1
	global_load_dword v8, v[2:3], off
	v_add_co_u32_e32 v4, vcc, 64, v4
	v_addc_co_u32_e32 v5, vcc, 0, v5, vcc
	v_add_co_u32_e32 v2, vcc, s24, v2
	v_addc_co_u32_e32 v3, vcc, v3, v7, vcc
	v_cmp_le_i64_e32 vcc, s[8:9], v[4:5]
	s_or_b64 s[12:13], vcc, s[12:13]
	s_waitcnt vmcnt(0)
	v_mul_f32_e32 v8, v8, v8
	v_add_f32_e32 v6, v6, v8
	s_andn2_b64 exec, exec, s[12:13]
	s_cbranch_execnz .LBB15_4
; %bb.5:
	s_or_b64 exec, exec, s[12:13]
.LBB15_6:
	s_or_b64 exec, exec, s[10:11]
	v_mbcnt_lo_u32_b32 v2, -1, 0
	v_mbcnt_hi_u32_b32 v2, -1, v2
	v_and_b32_e32 v3, 63, v2
	v_cmp_ne_u32_e32 vcc, 63, v3
	v_addc_co_u32_e32 v4, vcc, 0, v2, vcc
	v_lshlrev_b32_e32 v4, 2, v4
	ds_bpermute_b32 v4, v4, v6
	v_cmp_gt_u32_e32 vcc, 62, v3
	v_cndmask_b32_e64 v5, 0, 1, vcc
	v_lshlrev_b32_e32 v5, 1, v5
	v_add_lshl_u32 v5, v5, v2, 2
	s_waitcnt lgkmcnt(0)
	v_add_f32_e32 v4, v6, v4
	ds_bpermute_b32 v5, v5, v4
	v_cmp_gt_u32_e32 vcc, 60, v3
	v_cndmask_b32_e64 v6, 0, 1, vcc
	v_cmp_gt_u32_e32 vcc, 56, v3
	s_waitcnt lgkmcnt(0)
	v_add_f32_e32 v4, v4, v5
	v_lshlrev_b32_e32 v5, 2, v6
	v_add_lshl_u32 v5, v5, v2, 2
	ds_bpermute_b32 v5, v5, v4
	v_cndmask_b32_e64 v6, 0, 1, vcc
	v_cmp_gt_u32_e32 vcc, 48, v3
	s_waitcnt lgkmcnt(0)
	v_add_f32_e32 v4, v4, v5
	v_lshlrev_b32_e32 v5, 3, v6
	v_add_lshl_u32 v5, v5, v2, 2
	ds_bpermute_b32 v5, v5, v4
	v_cndmask_b32_e64 v6, 0, 1, vcc
	v_cmp_gt_u32_e32 vcc, 32, v3
	v_cndmask_b32_e64 v3, 0, 1, vcc
	v_lshlrev_b32_e32 v3, 5, v3
	s_waitcnt lgkmcnt(0)
	v_add_f32_e32 v4, v4, v5
	v_lshlrev_b32_e32 v5, 4, v6
	v_add_lshl_u32 v5, v5, v2, 2
	ds_bpermute_b32 v5, v5, v4
	v_add_lshl_u32 v2, v3, v2, 2
	v_cmp_eq_u64_e32 vcc, 0, v[0:1]
	s_waitcnt lgkmcnt(0)
	v_add_f32_e32 v4, v4, v5
	ds_bpermute_b32 v2, v2, v4
	s_waitcnt lgkmcnt(0)
	v_add_f32_e32 v2, v4, v2
	s_and_saveexec_b64 s[10:11], vcc
	s_cbranch_execz .LBB15_8
; %bb.7:
	v_mov_b32_e32 v3, 0
	ds_write_b32 v3, v2
.LBB15_8:
	s_or_b64 exec, exec, s[10:11]
	v_cmp_eq_u32_e32 vcc, 0, v0
	s_waitcnt lgkmcnt(0)
	; wave barrier
	s_waitcnt lgkmcnt(0)
	s_and_saveexec_b64 s[10:11], vcc
	s_cbranch_execz .LBB15_10
; %bb.9:
	v_mov_b32_e32 v3, 0
	ds_write_b32 v3, v2
.LBB15_10:
	s_or_b64 exec, exec, s[10:11]
	s_waitcnt lgkmcnt(0)
	; wave barrier
	s_waitcnt lgkmcnt(0)
	s_and_saveexec_b64 s[10:11], vcc
	s_cbranch_execz .LBB15_20
; %bb.11:
	s_load_dwordx4 s[24:27], s[4:5], 0x58
	s_lshl_b64 s[4:5], s[22:23], 2
	s_add_u32 s4, s2, s4
	s_addc_u32 s5, s3, s5
	v_mov_b32_e32 v2, 0
	s_waitcnt lgkmcnt(0)
	s_mul_i32 s2, s20, s27
	s_mul_hi_u32 s3, s20, s26
	s_add_i32 s3, s3, s2
	s_mul_i32 s2, s20, s26
	ds_read_b32 v3, v2
	s_lshl_b64 s[2:3], s[2:3], 2
	s_add_u32 s12, s24, s2
	s_addc_u32 s13, s25, s3
	s_cmp_eq_u64 s[14:15], 0
	s_cselect_b64 s[2:3], -1, 0
	s_cmp_lg_u64 s[14:15], 0
	s_waitcnt lgkmcnt(0)
	v_cmp_nlt_f32_e32 vcc, 0, v3
	s_mov_b64 s[22:23], 0
	s_cselect_b64 s[20:21], -1, 0
	s_cbranch_vccz .LBB15_14
; %bb.12:
	v_mov_b32_e32 v4, 1.0
	s_mov_b64 s[26:27], 0
	s_and_b64 vcc, exec, s[20:21]
	ds_write_b32 v2, v4
	global_store_dword v2, v2, s[12:13]
	s_cbranch_vccz .LBB15_15
; %bb.13:
	v_mov_b32_e32 v2, 0
	global_load_dword v2, v2, s[4:5]
	s_mov_b64 s[24:25], -1
	s_and_b64 vcc, exec, s[26:27]
	s_cbranch_vccnz .LBB15_16
	s_branch .LBB15_17
.LBB15_14:
	s_mov_b64 s[26:27], -1
.LBB15_15:
	s_mov_b64 s[24:25], 0
                                        ; implicit-def: $vgpr2
	s_and_b64 vcc, exec, s[26:27]
	s_cbranch_vccz .LBB15_17
.LBB15_16:
	v_mov_b32_e32 v4, 0
	global_load_dword v5, v4, s[4:5]
	s_mov_b32 s22, 0xf800000
	v_mov_b32_e32 v6, 0x260
	s_mov_b64 s[24:25], s[20:21]
	s_waitcnt vmcnt(0)
	v_fmac_f32_e32 v3, v5, v5
	v_mul_f32_e32 v2, 0x4f800000, v3
	v_cmp_gt_f32_e32 vcc, s22, v3
	v_cndmask_b32_e32 v2, v3, v2, vcc
	v_sqrt_f32_e32 v3, v2
	s_mov_b64 s[22:23], s[2:3]
	v_add_u32_e32 v7, -1, v3
	v_add_u32_e32 v8, 1, v3
	v_fma_f32 v9, -v7, v3, v2
	v_fma_f32 v10, -v8, v3, v2
	v_cmp_ge_f32_e64 s[2:3], 0, v9
	v_cndmask_b32_e64 v3, v3, v7, s[2:3]
	v_cmp_lt_f32_e64 s[2:3], 0, v10
	v_cndmask_b32_e64 v3, v3, v8, s[2:3]
	v_mul_f32_e32 v7, 0x37800000, v3
	v_cndmask_b32_e32 v3, v3, v7, vcc
	v_cmp_class_f32_e32 vcc, v2, v6
	v_cndmask_b32_e32 v2, v3, v2, vcc
	v_cmp_le_f32_e32 vcc, 0, v5
	v_cndmask_b32_e64 v2, v2, -v2, vcc
	v_sub_f32_e32 v3, v5, v2
	v_sub_f32_e32 v5, v2, v5
	v_div_scale_f32 v6, s[2:3], v3, v3, 1.0
	v_div_scale_f32 v8, s[2:3], v2, v2, v5
	v_rcp_f32_e32 v9, v6
	v_rcp_f32_e32 v10, v8
	v_div_scale_f32 v7, vcc, 1.0, v3, 1.0
	v_fma_f32 v12, -v6, v9, 1.0
	v_fma_f32 v13, -v8, v10, 1.0
	v_fmac_f32_e32 v9, v12, v9
	v_div_scale_f32 v11, s[2:3], v5, v2, v5
	v_fmac_f32_e32 v10, v13, v10
	v_mul_f32_e32 v12, v7, v9
	v_mul_f32_e32 v13, v11, v10
	v_fma_f32 v14, -v6, v12, v7
	v_fma_f32 v15, -v8, v13, v11
	v_fmac_f32_e32 v12, v14, v9
	v_fmac_f32_e32 v13, v15, v10
	v_fma_f32 v6, -v6, v12, v7
	v_fma_f32 v7, -v8, v13, v11
	v_div_fmas_f32 v6, v6, v9, v12
	s_mov_b64 vcc, s[2:3]
	v_div_fixup_f32 v3, v6, v3, 1.0
	v_div_fmas_f32 v6, v7, v10, v13
	ds_write_b32 v4, v3
	v_div_fixup_f32 v3, v6, v2, v5
	global_store_dword v4, v3, s[12:13]
.LBB15_17:
	s_andn2_b64 vcc, exec, s[24:25]
	s_cbranch_vccz .LBB15_24
; %bb.18:
	s_andn2_b64 vcc, exec, s[22:23]
	s_cbranch_vccnz .LBB15_20
.LBB15_19:
	v_mov_b32_e32 v3, 0
	s_waitcnt vmcnt(0)
	global_store_dword v3, v2, s[4:5]
.LBB15_20:
	s_or_b64 exec, exec, s[10:11]
	s_waitcnt lgkmcnt(0)
	; wave barrier
	s_waitcnt lgkmcnt(0)
	s_and_saveexec_b64 s[2:3], s[0:1]
	s_cbranch_execz .LBB15_23
; %bb.21:
	s_waitcnt vmcnt(0)
	v_mov_b32_e32 v2, 0
	ds_read_b32 v4, v2
	v_mad_u64_u32 v[2:3], s[0:1], s18, v0, 0
	v_mov_b32_e32 v6, v3
	v_mad_u64_u32 v[6:7], s[0:1], s19, v0, v[6:7]
	s_lshl_b64 s[0:1], s[16:17], 2
	v_mov_b32_e32 v3, v6
	s_add_u32 s0, s6, s0
	v_lshlrev_b64 v[2:3], 2, v[2:3]
	s_addc_u32 s1, s7, s1
	v_mov_b32_e32 v5, s1
	v_add_co_u32_e32 v2, vcc, s0, v2
	s_lshl_b64 s[0:1], s[18:19], 8
	v_addc_co_u32_e32 v3, vcc, v5, v3, vcc
	s_mov_b64 s[2:3], 0
	v_mov_b32_e32 v5, s1
.LBB15_22:                              ; =>This Inner Loop Header: Depth=1
	global_load_dword v6, v[2:3], off
	v_add_co_u32_e32 v0, vcc, 64, v0
	v_addc_co_u32_e32 v1, vcc, 0, v1, vcc
	v_cmp_le_i64_e32 vcc, s[8:9], v[0:1]
	s_or_b64 s[2:3], vcc, s[2:3]
	s_waitcnt vmcnt(0) lgkmcnt(0)
	v_mul_f32_e32 v6, v4, v6
	global_store_dword v[2:3], v6, off
	v_add_co_u32_e32 v2, vcc, s0, v2
	v_addc_co_u32_e32 v3, vcc, v3, v5, vcc
	s_andn2_b64 exec, exec, s[2:3]
	s_cbranch_execnz .LBB15_22
.LBB15_23:
	s_endpgm
.LBB15_24:
	v_pk_mov_b32 v[4:5], s[14:15], s[14:15] op_sel:[0,1]
	s_waitcnt vmcnt(0)
	flat_store_dword v[4:5], v2
	v_mov_b32_e32 v2, 1.0
	s_branch .LBB15_19
	.section	.rodata,"a",@progbits
	.p2align	6, 0x0
	.amdhsa_kernel _ZN9rocsolver6v33100L18larfg_kernel_smallILi64EflfPKPfEEvT1_T3_llPT2_llS6_lS5_lPT0_l
		.amdhsa_group_segment_fixed_size 4
		.amdhsa_private_segment_fixed_size 0
		.amdhsa_kernarg_size 104
		.amdhsa_user_sgpr_count 6
		.amdhsa_user_sgpr_private_segment_buffer 1
		.amdhsa_user_sgpr_dispatch_ptr 0
		.amdhsa_user_sgpr_queue_ptr 0
		.amdhsa_user_sgpr_kernarg_segment_ptr 1
		.amdhsa_user_sgpr_dispatch_id 0
		.amdhsa_user_sgpr_flat_scratch_init 0
		.amdhsa_user_sgpr_kernarg_preload_length 0
		.amdhsa_user_sgpr_kernarg_preload_offset 0
		.amdhsa_user_sgpr_private_segment_size 0
		.amdhsa_uses_dynamic_stack 0
		.amdhsa_system_sgpr_private_segment_wavefront_offset 0
		.amdhsa_system_sgpr_workgroup_id_x 1
		.amdhsa_system_sgpr_workgroup_id_y 0
		.amdhsa_system_sgpr_workgroup_id_z 1
		.amdhsa_system_sgpr_workgroup_info 0
		.amdhsa_system_vgpr_workitem_id 0
		.amdhsa_next_free_vgpr 16
		.amdhsa_next_free_sgpr 28
		.amdhsa_accum_offset 16
		.amdhsa_reserve_vcc 1
		.amdhsa_reserve_flat_scratch 0
		.amdhsa_float_round_mode_32 0
		.amdhsa_float_round_mode_16_64 0
		.amdhsa_float_denorm_mode_32 3
		.amdhsa_float_denorm_mode_16_64 3
		.amdhsa_dx10_clamp 1
		.amdhsa_ieee_mode 1
		.amdhsa_fp16_overflow 0
		.amdhsa_tg_split 0
		.amdhsa_exception_fp_ieee_invalid_op 0
		.amdhsa_exception_fp_denorm_src 0
		.amdhsa_exception_fp_ieee_div_zero 0
		.amdhsa_exception_fp_ieee_overflow 0
		.amdhsa_exception_fp_ieee_underflow 0
		.amdhsa_exception_fp_ieee_inexact 0
		.amdhsa_exception_int_div_zero 0
	.end_amdhsa_kernel
	.section	.text._ZN9rocsolver6v33100L18larfg_kernel_smallILi64EflfPKPfEEvT1_T3_llPT2_llS6_lS5_lPT0_l,"axG",@progbits,_ZN9rocsolver6v33100L18larfg_kernel_smallILi64EflfPKPfEEvT1_T3_llPT2_llS6_lS5_lPT0_l,comdat
.Lfunc_end15:
	.size	_ZN9rocsolver6v33100L18larfg_kernel_smallILi64EflfPKPfEEvT1_T3_llPT2_llS6_lS5_lPT0_l, .Lfunc_end15-_ZN9rocsolver6v33100L18larfg_kernel_smallILi64EflfPKPfEEvT1_T3_llPT2_llS6_lS5_lPT0_l
                                        ; -- End function
	.section	.AMDGPU.csdata,"",@progbits
; Kernel info:
; codeLenInByte = 1356
; NumSgprs: 32
; NumVgprs: 16
; NumAgprs: 0
; TotalNumVgprs: 16
; ScratchSize: 0
; MemoryBound: 0
; FloatMode: 240
; IeeeMode: 1
; LDSByteSize: 4 bytes/workgroup (compile time only)
; SGPRBlocks: 3
; VGPRBlocks: 1
; NumSGPRsForWavesPerEU: 32
; NumVGPRsForWavesPerEU: 16
; AccumOffset: 16
; Occupancy: 8
; WaveLimiterHint : 1
; COMPUTE_PGM_RSRC2:SCRATCH_EN: 0
; COMPUTE_PGM_RSRC2:USER_SGPR: 6
; COMPUTE_PGM_RSRC2:TRAP_HANDLER: 0
; COMPUTE_PGM_RSRC2:TGID_X_EN: 1
; COMPUTE_PGM_RSRC2:TGID_Y_EN: 0
; COMPUTE_PGM_RSRC2:TGID_Z_EN: 1
; COMPUTE_PGM_RSRC2:TIDIG_COMP_CNT: 0
; COMPUTE_PGM_RSRC3_GFX90A:ACCUM_OFFSET: 3
; COMPUTE_PGM_RSRC3_GFX90A:TG_SPLIT: 0
	.section	.text._ZN9rocsolver6v33100L18larfg_kernel_smallILi128EflfPKPfEEvT1_T3_llPT2_llS6_lS5_lPT0_l,"axG",@progbits,_ZN9rocsolver6v33100L18larfg_kernel_smallILi128EflfPKPfEEvT1_T3_llPT2_llS6_lS5_lPT0_l,comdat
	.globl	_ZN9rocsolver6v33100L18larfg_kernel_smallILi128EflfPKPfEEvT1_T3_llPT2_llS6_lS5_lPT0_l ; -- Begin function _ZN9rocsolver6v33100L18larfg_kernel_smallILi128EflfPKPfEEvT1_T3_llPT2_llS6_lS5_lPT0_l
	.p2align	8
	.type	_ZN9rocsolver6v33100L18larfg_kernel_smallILi128EflfPKPfEEvT1_T3_llPT2_llS6_lS5_lPT0_l,@function
_ZN9rocsolver6v33100L18larfg_kernel_smallILi128EflfPKPfEEvT1_T3_llPT2_llS6_lS5_lPT0_l: ; @_ZN9rocsolver6v33100L18larfg_kernel_smallILi128EflfPKPfEEvT1_T3_llPT2_llS6_lS5_lPT0_l
; %bb.0:
	s_mov_b32 s22, s7
	s_load_dwordx4 s[0:3], s[4:5], 0x0
	s_load_dwordx2 s[24:25], s[4:5], 0x10
	s_load_dwordx8 s[8:15], s[4:5], 0x20
	s_load_dwordx4 s[16:19], s[4:5], 0x40
	s_mov_b32 s23, 0
	s_lshl_b64 s[6:7], s[22:23], 3
	s_waitcnt lgkmcnt(0)
	s_add_u32 s2, s2, s6
	s_addc_u32 s3, s3, s7
	s_add_u32 s6, s14, s6
	s_addc_u32 s7, s15, s7
	s_load_dwordx2 s[14:15], s[6:7], 0x0
	s_cmp_eq_u64 s[8:9], 0
	s_mov_b64 s[20:21], 0
	s_cbranch_scc1 .LBB16_2
; %bb.1:
	s_mul_i32 s6, s22, s13
	s_mul_hi_u32 s7, s22, s12
	s_add_i32 s7, s7, s6
	s_mul_i32 s6, s22, s12
	s_lshl_b64 s[6:7], s[6:7], 2
	s_add_u32 s8, s8, s6
	s_addc_u32 s9, s9, s7
	s_lshl_b64 s[6:7], s[10:11], 2
	s_add_u32 s20, s8, s6
	s_addc_u32 s21, s9, s7
.LBB16_2:
	s_load_dwordx2 s[10:11], s[2:3], 0x0
	s_add_u32 s6, s0, -1
	v_mov_b32_e32 v1, 0
	s_addc_u32 s7, s1, -1
	v_cmp_gt_i64_e64 s[0:1], s[6:7], v[0:1]
	v_mov_b32_e32 v6, v1
	s_and_saveexec_b64 s[8:9], s[0:1]
	s_cbranch_execz .LBB16_6
; %bb.3:
	v_mad_u64_u32 v[2:3], s[2:3], s18, v0, 0
	v_mov_b32_e32 v4, v3
	v_mad_u64_u32 v[4:5], s[2:3], s19, v0, v[4:5]
	s_lshl_b64 s[2:3], s[16:17], 2
	v_mov_b32_e32 v3, v4
	s_waitcnt lgkmcnt(0)
	s_add_u32 s2, s14, s2
	v_lshlrev_b64 v[2:3], 2, v[2:3]
	s_addc_u32 s3, s15, s3
	v_mov_b32_e32 v4, s3
	v_add_co_u32_e32 v2, vcc, s2, v2
	s_lshl_b64 s[26:27], s[18:19], 9
	v_addc_co_u32_e32 v3, vcc, v4, v3, vcc
	s_mov_b64 s[12:13], 0
	v_mov_b32_e32 v6, 0
	v_mov_b32_e32 v7, s27
	v_pk_mov_b32 v[4:5], v[0:1], v[0:1] op_sel:[0,1]
.LBB16_4:                               ; =>This Inner Loop Header: Depth=1
	global_load_dword v8, v[2:3], off
	v_add_co_u32_e32 v4, vcc, 0x80, v4
	v_addc_co_u32_e32 v5, vcc, 0, v5, vcc
	v_add_co_u32_e64 v2, s[2:3], s26, v2
	v_cmp_le_i64_e32 vcc, s[6:7], v[4:5]
	v_addc_co_u32_e64 v3, s[2:3], v3, v7, s[2:3]
	s_or_b64 s[12:13], vcc, s[12:13]
	s_waitcnt vmcnt(0)
	v_mul_f32_e32 v8, v8, v8
	v_add_f32_e32 v6, v6, v8
	s_andn2_b64 exec, exec, s[12:13]
	s_cbranch_execnz .LBB16_4
; %bb.5:
	s_or_b64 exec, exec, s[12:13]
.LBB16_6:
	s_or_b64 exec, exec, s[8:9]
	v_mbcnt_lo_u32_b32 v2, -1, 0
	v_mbcnt_hi_u32_b32 v2, -1, v2
	v_and_b32_e32 v3, 63, v2
	v_cmp_ne_u32_e32 vcc, 63, v3
	v_addc_co_u32_e32 v4, vcc, 0, v2, vcc
	v_lshlrev_b32_e32 v4, 2, v4
	ds_bpermute_b32 v4, v4, v6
	v_cmp_gt_u32_e32 vcc, 62, v3
	v_cndmask_b32_e64 v5, 0, 1, vcc
	v_lshlrev_b32_e32 v5, 1, v5
	v_add_lshl_u32 v5, v5, v2, 2
	s_waitcnt lgkmcnt(0)
	v_add_f32_e32 v4, v6, v4
	ds_bpermute_b32 v5, v5, v4
	v_cmp_gt_u32_e32 vcc, 60, v3
	v_cndmask_b32_e64 v6, 0, 1, vcc
	v_cmp_gt_u32_e32 vcc, 56, v3
	s_waitcnt lgkmcnt(0)
	v_add_f32_e32 v4, v4, v5
	v_lshlrev_b32_e32 v5, 2, v6
	v_add_lshl_u32 v5, v5, v2, 2
	ds_bpermute_b32 v5, v5, v4
	v_cndmask_b32_e64 v6, 0, 1, vcc
	v_cmp_gt_u32_e32 vcc, 48, v3
	s_waitcnt lgkmcnt(0)
	v_add_f32_e32 v4, v4, v5
	v_lshlrev_b32_e32 v5, 3, v6
	v_add_lshl_u32 v5, v5, v2, 2
	ds_bpermute_b32 v5, v5, v4
	v_cndmask_b32_e64 v6, 0, 1, vcc
	v_cmp_gt_u32_e32 vcc, 32, v3
	v_cndmask_b32_e64 v3, 0, 1, vcc
	v_lshlrev_b32_e32 v3, 5, v3
	s_waitcnt lgkmcnt(0)
	v_add_f32_e32 v4, v4, v5
	v_lshlrev_b32_e32 v5, 4, v6
	v_add_lshl_u32 v5, v5, v2, 2
	ds_bpermute_b32 v5, v5, v4
	v_add_lshl_u32 v2, v3, v2, 2
	s_waitcnt lgkmcnt(0)
	v_add_f32_e32 v6, v4, v5
	ds_bpermute_b32 v2, v2, v6
	v_mov_b32_e32 v5, 0
	v_and_b32_e32 v4, 63, v0
	v_cmp_eq_u64_e32 vcc, 0, v[4:5]
	s_waitcnt lgkmcnt(0)
	v_add_f32_e32 v2, v6, v2
	s_and_saveexec_b64 s[2:3], vcc
	s_cbranch_execz .LBB16_8
; %bb.7:
	v_lshrrev_b32_e32 v3, 4, v0
	v_and_b32_e32 v3, 4, v3
	ds_write_b32 v3, v2
.LBB16_8:
	s_or_b64 exec, exec, s[2:3]
	v_cmp_eq_u32_e32 vcc, 0, v0
	s_waitcnt lgkmcnt(0)
	s_barrier
	s_and_saveexec_b64 s[2:3], vcc
	s_cbranch_execz .LBB16_10
; %bb.9:
	v_mov_b32_e32 v3, 0
	ds_read_b32 v4, v3 offset:4
	s_waitcnt lgkmcnt(0)
	v_add_f32_e32 v2, v2, v4
	ds_write_b32 v3, v2
.LBB16_10:
	s_or_b64 exec, exec, s[2:3]
	s_waitcnt lgkmcnt(0)
	s_barrier
	s_and_saveexec_b64 s[8:9], vcc
	s_cbranch_execz .LBB16_20
; %bb.11:
	s_load_dwordx4 s[28:31], s[4:5], 0x58
	s_lshl_b64 s[2:3], s[24:25], 2
	s_add_u32 s4, s10, s2
	s_addc_u32 s5, s11, s3
	v_mov_b32_e32 v2, 0
	s_waitcnt lgkmcnt(0)
	s_mul_i32 s2, s22, s31
	s_mul_hi_u32 s3, s22, s30
	s_add_i32 s3, s3, s2
	s_mul_i32 s2, s22, s30
	ds_read_b32 v3, v2
	s_lshl_b64 s[2:3], s[2:3], 2
	s_add_u32 s10, s28, s2
	s_addc_u32 s11, s29, s3
	s_cmp_eq_u64 s[20:21], 0
	s_cselect_b64 s[2:3], -1, 0
	s_cmp_lg_u64 s[20:21], 0
	s_waitcnt lgkmcnt(0)
	v_cmp_nlt_f32_e32 vcc, 0, v3
	s_mov_b64 s[22:23], 0
	s_cselect_b64 s[12:13], -1, 0
	s_cbranch_vccz .LBB16_14
; %bb.12:
	v_mov_b32_e32 v4, 1.0
	s_mov_b64 s[26:27], 0
	s_and_b64 vcc, exec, s[12:13]
	ds_write_b32 v2, v4
	global_store_dword v2, v2, s[10:11]
	s_cbranch_vccz .LBB16_15
; %bb.13:
	v_mov_b32_e32 v2, 0
	global_load_dword v2, v2, s[4:5]
	s_mov_b64 s[24:25], -1
	s_and_b64 vcc, exec, s[26:27]
	s_cbranch_vccnz .LBB16_16
	s_branch .LBB16_17
.LBB16_14:
	s_mov_b64 s[26:27], -1
.LBB16_15:
	s_mov_b64 s[24:25], 0
                                        ; implicit-def: $vgpr2
	s_and_b64 vcc, exec, s[26:27]
	s_cbranch_vccz .LBB16_17
.LBB16_16:
	v_mov_b32_e32 v4, 0
	global_load_dword v5, v4, s[4:5]
	s_mov_b32 s22, 0xf800000
	v_mov_b32_e32 v6, 0x260
	s_mov_b64 s[24:25], s[12:13]
	s_waitcnt vmcnt(0)
	v_fmac_f32_e32 v3, v5, v5
	v_mul_f32_e32 v2, 0x4f800000, v3
	v_cmp_gt_f32_e32 vcc, s22, v3
	v_cndmask_b32_e32 v2, v3, v2, vcc
	v_sqrt_f32_e32 v3, v2
	s_mov_b64 s[22:23], s[2:3]
	v_add_u32_e32 v7, -1, v3
	v_add_u32_e32 v8, 1, v3
	v_fma_f32 v9, -v7, v3, v2
	v_fma_f32 v10, -v8, v3, v2
	v_cmp_ge_f32_e64 s[2:3], 0, v9
	v_cndmask_b32_e64 v3, v3, v7, s[2:3]
	v_cmp_lt_f32_e64 s[2:3], 0, v10
	v_cndmask_b32_e64 v3, v3, v8, s[2:3]
	v_mul_f32_e32 v7, 0x37800000, v3
	v_cndmask_b32_e32 v3, v3, v7, vcc
	v_cmp_class_f32_e32 vcc, v2, v6
	v_cndmask_b32_e32 v2, v3, v2, vcc
	v_cmp_le_f32_e32 vcc, 0, v5
	v_cndmask_b32_e64 v2, v2, -v2, vcc
	v_sub_f32_e32 v3, v5, v2
	v_sub_f32_e32 v5, v2, v5
	v_div_scale_f32 v6, s[2:3], v3, v3, 1.0
	v_div_scale_f32 v8, s[2:3], v2, v2, v5
	v_rcp_f32_e32 v9, v6
	v_rcp_f32_e32 v10, v8
	v_div_scale_f32 v7, vcc, 1.0, v3, 1.0
	v_fma_f32 v12, -v6, v9, 1.0
	v_fma_f32 v13, -v8, v10, 1.0
	v_fmac_f32_e32 v9, v12, v9
	v_div_scale_f32 v11, s[2:3], v5, v2, v5
	v_fmac_f32_e32 v10, v13, v10
	v_mul_f32_e32 v12, v7, v9
	v_mul_f32_e32 v13, v11, v10
	v_fma_f32 v14, -v6, v12, v7
	v_fma_f32 v15, -v8, v13, v11
	v_fmac_f32_e32 v12, v14, v9
	v_fmac_f32_e32 v13, v15, v10
	v_fma_f32 v6, -v6, v12, v7
	v_fma_f32 v7, -v8, v13, v11
	v_div_fmas_f32 v6, v6, v9, v12
	s_mov_b64 vcc, s[2:3]
	v_div_fixup_f32 v3, v6, v3, 1.0
	v_div_fmas_f32 v6, v7, v10, v13
	ds_write_b32 v4, v3
	v_div_fixup_f32 v3, v6, v2, v5
	global_store_dword v4, v3, s[10:11]
.LBB16_17:
	s_andn2_b64 vcc, exec, s[24:25]
	s_cbranch_vccz .LBB16_24
; %bb.18:
	s_andn2_b64 vcc, exec, s[22:23]
	s_cbranch_vccnz .LBB16_20
.LBB16_19:
	v_mov_b32_e32 v3, 0
	s_waitcnt vmcnt(0)
	global_store_dword v3, v2, s[4:5]
.LBB16_20:
	s_or_b64 exec, exec, s[8:9]
	s_waitcnt lgkmcnt(0)
	s_barrier
	s_and_saveexec_b64 s[2:3], s[0:1]
	s_cbranch_execz .LBB16_23
; %bb.21:
	s_waitcnt vmcnt(0)
	v_mov_b32_e32 v2, 0
	ds_read_b32 v4, v2
	v_mad_u64_u32 v[2:3], s[0:1], s18, v0, 0
	v_mov_b32_e32 v6, v3
	v_mad_u64_u32 v[6:7], s[0:1], s19, v0, v[6:7]
	s_lshl_b64 s[0:1], s[16:17], 2
	v_mov_b32_e32 v3, v6
	s_add_u32 s0, s14, s0
	v_lshlrev_b64 v[2:3], 2, v[2:3]
	s_addc_u32 s1, s15, s1
	v_mov_b32_e32 v5, s1
	v_add_co_u32_e32 v2, vcc, s0, v2
	s_lshl_b64 s[0:1], s[18:19], 9
	v_addc_co_u32_e32 v3, vcc, v5, v3, vcc
	s_mov_b64 s[2:3], 0
	v_mov_b32_e32 v5, s1
.LBB16_22:                              ; =>This Inner Loop Header: Depth=1
	global_load_dword v6, v[2:3], off
	v_add_co_u32_e32 v0, vcc, 0x80, v0
	v_addc_co_u32_e32 v1, vcc, 0, v1, vcc
	v_cmp_le_i64_e32 vcc, s[6:7], v[0:1]
	s_or_b64 s[2:3], vcc, s[2:3]
	s_waitcnt vmcnt(0) lgkmcnt(0)
	v_mul_f32_e32 v6, v4, v6
	global_store_dword v[2:3], v6, off
	v_add_co_u32_e32 v2, vcc, s0, v2
	v_addc_co_u32_e32 v3, vcc, v3, v5, vcc
	s_andn2_b64 exec, exec, s[2:3]
	s_cbranch_execnz .LBB16_22
.LBB16_23:
	s_endpgm
.LBB16_24:
	v_pk_mov_b32 v[4:5], s[20:21], s[20:21] op_sel:[0,1]
	s_waitcnt vmcnt(0)
	flat_store_dword v[4:5], v2
	v_mov_b32_e32 v2, 1.0
	s_branch .LBB16_19
	.section	.rodata,"a",@progbits
	.p2align	6, 0x0
	.amdhsa_kernel _ZN9rocsolver6v33100L18larfg_kernel_smallILi128EflfPKPfEEvT1_T3_llPT2_llS6_lS5_lPT0_l
		.amdhsa_group_segment_fixed_size 8
		.amdhsa_private_segment_fixed_size 0
		.amdhsa_kernarg_size 104
		.amdhsa_user_sgpr_count 6
		.amdhsa_user_sgpr_private_segment_buffer 1
		.amdhsa_user_sgpr_dispatch_ptr 0
		.amdhsa_user_sgpr_queue_ptr 0
		.amdhsa_user_sgpr_kernarg_segment_ptr 1
		.amdhsa_user_sgpr_dispatch_id 0
		.amdhsa_user_sgpr_flat_scratch_init 0
		.amdhsa_user_sgpr_kernarg_preload_length 0
		.amdhsa_user_sgpr_kernarg_preload_offset 0
		.amdhsa_user_sgpr_private_segment_size 0
		.amdhsa_uses_dynamic_stack 0
		.amdhsa_system_sgpr_private_segment_wavefront_offset 0
		.amdhsa_system_sgpr_workgroup_id_x 1
		.amdhsa_system_sgpr_workgroup_id_y 0
		.amdhsa_system_sgpr_workgroup_id_z 1
		.amdhsa_system_sgpr_workgroup_info 0
		.amdhsa_system_vgpr_workitem_id 0
		.amdhsa_next_free_vgpr 16
		.amdhsa_next_free_sgpr 32
		.amdhsa_accum_offset 16
		.amdhsa_reserve_vcc 1
		.amdhsa_reserve_flat_scratch 0
		.amdhsa_float_round_mode_32 0
		.amdhsa_float_round_mode_16_64 0
		.amdhsa_float_denorm_mode_32 3
		.amdhsa_float_denorm_mode_16_64 3
		.amdhsa_dx10_clamp 1
		.amdhsa_ieee_mode 1
		.amdhsa_fp16_overflow 0
		.amdhsa_tg_split 0
		.amdhsa_exception_fp_ieee_invalid_op 0
		.amdhsa_exception_fp_denorm_src 0
		.amdhsa_exception_fp_ieee_div_zero 0
		.amdhsa_exception_fp_ieee_overflow 0
		.amdhsa_exception_fp_ieee_underflow 0
		.amdhsa_exception_fp_ieee_inexact 0
		.amdhsa_exception_int_div_zero 0
	.end_amdhsa_kernel
	.section	.text._ZN9rocsolver6v33100L18larfg_kernel_smallILi128EflfPKPfEEvT1_T3_llPT2_llS6_lS5_lPT0_l,"axG",@progbits,_ZN9rocsolver6v33100L18larfg_kernel_smallILi128EflfPKPfEEvT1_T3_llPT2_llS6_lS5_lPT0_l,comdat
.Lfunc_end16:
	.size	_ZN9rocsolver6v33100L18larfg_kernel_smallILi128EflfPKPfEEvT1_T3_llPT2_llS6_lS5_lPT0_l, .Lfunc_end16-_ZN9rocsolver6v33100L18larfg_kernel_smallILi128EflfPKPfEEvT1_T3_llPT2_llS6_lS5_lPT0_l
                                        ; -- End function
	.section	.AMDGPU.csdata,"",@progbits
; Kernel info:
; codeLenInByte = 1400
; NumSgprs: 36
; NumVgprs: 16
; NumAgprs: 0
; TotalNumVgprs: 16
; ScratchSize: 0
; MemoryBound: 0
; FloatMode: 240
; IeeeMode: 1
; LDSByteSize: 8 bytes/workgroup (compile time only)
; SGPRBlocks: 4
; VGPRBlocks: 1
; NumSGPRsForWavesPerEU: 36
; NumVGPRsForWavesPerEU: 16
; AccumOffset: 16
; Occupancy: 8
; WaveLimiterHint : 1
; COMPUTE_PGM_RSRC2:SCRATCH_EN: 0
; COMPUTE_PGM_RSRC2:USER_SGPR: 6
; COMPUTE_PGM_RSRC2:TRAP_HANDLER: 0
; COMPUTE_PGM_RSRC2:TGID_X_EN: 1
; COMPUTE_PGM_RSRC2:TGID_Y_EN: 0
; COMPUTE_PGM_RSRC2:TGID_Z_EN: 1
; COMPUTE_PGM_RSRC2:TIDIG_COMP_CNT: 0
; COMPUTE_PGM_RSRC3_GFX90A:ACCUM_OFFSET: 3
; COMPUTE_PGM_RSRC3_GFX90A:TG_SPLIT: 0
	.section	.text._ZN9rocsolver6v33100L18larfg_kernel_smallILi256EflfPKPfEEvT1_T3_llPT2_llS6_lS5_lPT0_l,"axG",@progbits,_ZN9rocsolver6v33100L18larfg_kernel_smallILi256EflfPKPfEEvT1_T3_llPT2_llS6_lS5_lPT0_l,comdat
	.globl	_ZN9rocsolver6v33100L18larfg_kernel_smallILi256EflfPKPfEEvT1_T3_llPT2_llS6_lS5_lPT0_l ; -- Begin function _ZN9rocsolver6v33100L18larfg_kernel_smallILi256EflfPKPfEEvT1_T3_llPT2_llS6_lS5_lPT0_l
	.p2align	8
	.type	_ZN9rocsolver6v33100L18larfg_kernel_smallILi256EflfPKPfEEvT1_T3_llPT2_llS6_lS5_lPT0_l,@function
_ZN9rocsolver6v33100L18larfg_kernel_smallILi256EflfPKPfEEvT1_T3_llPT2_llS6_lS5_lPT0_l: ; @_ZN9rocsolver6v33100L18larfg_kernel_smallILi256EflfPKPfEEvT1_T3_llPT2_llS6_lS5_lPT0_l
; %bb.0:
	s_mov_b32 s22, s7
	s_load_dwordx4 s[0:3], s[4:5], 0x0
	s_load_dwordx2 s[24:25], s[4:5], 0x10
	s_load_dwordx8 s[8:15], s[4:5], 0x20
	s_load_dwordx4 s[16:19], s[4:5], 0x40
	s_mov_b32 s23, 0
	s_lshl_b64 s[6:7], s[22:23], 3
	s_waitcnt lgkmcnt(0)
	s_add_u32 s2, s2, s6
	s_addc_u32 s3, s3, s7
	s_add_u32 s6, s14, s6
	s_addc_u32 s7, s15, s7
	s_load_dwordx2 s[14:15], s[6:7], 0x0
	s_cmp_eq_u64 s[8:9], 0
	s_mov_b64 s[20:21], 0
	s_cbranch_scc1 .LBB17_2
; %bb.1:
	s_mul_i32 s6, s22, s13
	s_mul_hi_u32 s7, s22, s12
	s_add_i32 s7, s7, s6
	s_mul_i32 s6, s22, s12
	s_lshl_b64 s[6:7], s[6:7], 2
	s_add_u32 s8, s8, s6
	s_addc_u32 s9, s9, s7
	s_lshl_b64 s[6:7], s[10:11], 2
	s_add_u32 s20, s8, s6
	s_addc_u32 s21, s9, s7
.LBB17_2:
	s_load_dwordx2 s[10:11], s[2:3], 0x0
	s_add_u32 s6, s0, -1
	v_mov_b32_e32 v1, 0
	s_addc_u32 s7, s1, -1
	v_cmp_gt_i64_e64 s[0:1], s[6:7], v[0:1]
	v_mov_b32_e32 v6, v1
	s_and_saveexec_b64 s[8:9], s[0:1]
	s_cbranch_execz .LBB17_6
; %bb.3:
	v_mad_u64_u32 v[2:3], s[2:3], s18, v0, 0
	v_mov_b32_e32 v4, v3
	v_mad_u64_u32 v[4:5], s[2:3], s19, v0, v[4:5]
	s_lshl_b64 s[2:3], s[16:17], 2
	v_mov_b32_e32 v3, v4
	s_waitcnt lgkmcnt(0)
	s_add_u32 s2, s14, s2
	v_lshlrev_b64 v[2:3], 2, v[2:3]
	s_addc_u32 s3, s15, s3
	v_mov_b32_e32 v4, s3
	v_add_co_u32_e32 v2, vcc, s2, v2
	s_lshl_b64 s[26:27], s[18:19], 10
	v_addc_co_u32_e32 v3, vcc, v4, v3, vcc
	s_mov_b64 s[12:13], 0
	v_mov_b32_e32 v6, 0
	v_mov_b32_e32 v7, s27
	v_pk_mov_b32 v[4:5], v[0:1], v[0:1] op_sel:[0,1]
.LBB17_4:                               ; =>This Inner Loop Header: Depth=1
	global_load_dword v8, v[2:3], off
	v_add_co_u32_e32 v4, vcc, 0x100, v4
	v_addc_co_u32_e32 v5, vcc, 0, v5, vcc
	v_add_co_u32_e64 v2, s[2:3], s26, v2
	v_cmp_le_i64_e32 vcc, s[6:7], v[4:5]
	v_addc_co_u32_e64 v3, s[2:3], v3, v7, s[2:3]
	s_or_b64 s[12:13], vcc, s[12:13]
	s_waitcnt vmcnt(0)
	v_mul_f32_e32 v8, v8, v8
	v_add_f32_e32 v6, v6, v8
	s_andn2_b64 exec, exec, s[12:13]
	s_cbranch_execnz .LBB17_4
; %bb.5:
	s_or_b64 exec, exec, s[12:13]
.LBB17_6:
	s_or_b64 exec, exec, s[8:9]
	v_mbcnt_lo_u32_b32 v2, -1, 0
	v_mbcnt_hi_u32_b32 v2, -1, v2
	v_and_b32_e32 v3, 63, v2
	v_cmp_ne_u32_e32 vcc, 63, v3
	v_addc_co_u32_e32 v4, vcc, 0, v2, vcc
	v_lshlrev_b32_e32 v4, 2, v4
	ds_bpermute_b32 v4, v4, v6
	v_cmp_gt_u32_e32 vcc, 62, v3
	v_cndmask_b32_e64 v5, 0, 1, vcc
	v_lshlrev_b32_e32 v5, 1, v5
	v_add_lshl_u32 v5, v5, v2, 2
	s_waitcnt lgkmcnt(0)
	v_add_f32_e32 v4, v6, v4
	ds_bpermute_b32 v5, v5, v4
	v_cmp_gt_u32_e32 vcc, 60, v3
	v_cndmask_b32_e64 v6, 0, 1, vcc
	v_cmp_gt_u32_e32 vcc, 56, v3
	s_waitcnt lgkmcnt(0)
	v_add_f32_e32 v4, v4, v5
	v_lshlrev_b32_e32 v5, 2, v6
	v_add_lshl_u32 v5, v5, v2, 2
	ds_bpermute_b32 v5, v5, v4
	v_cndmask_b32_e64 v6, 0, 1, vcc
	v_cmp_gt_u32_e32 vcc, 48, v3
	s_waitcnt lgkmcnt(0)
	v_add_f32_e32 v4, v4, v5
	v_lshlrev_b32_e32 v5, 3, v6
	v_add_lshl_u32 v5, v5, v2, 2
	ds_bpermute_b32 v5, v5, v4
	v_cndmask_b32_e64 v6, 0, 1, vcc
	v_cmp_gt_u32_e32 vcc, 32, v3
	v_cndmask_b32_e64 v3, 0, 1, vcc
	v_lshlrev_b32_e32 v3, 5, v3
	s_waitcnt lgkmcnt(0)
	v_add_f32_e32 v4, v4, v5
	v_lshlrev_b32_e32 v5, 4, v6
	v_add_lshl_u32 v5, v5, v2, 2
	ds_bpermute_b32 v5, v5, v4
	v_add_lshl_u32 v2, v3, v2, 2
	s_waitcnt lgkmcnt(0)
	v_add_f32_e32 v6, v4, v5
	ds_bpermute_b32 v2, v2, v6
	v_mov_b32_e32 v5, 0
	v_and_b32_e32 v4, 63, v0
	v_cmp_eq_u64_e32 vcc, 0, v[4:5]
	s_waitcnt lgkmcnt(0)
	v_add_f32_e32 v2, v6, v2
	s_and_saveexec_b64 s[2:3], vcc
	s_cbranch_execz .LBB17_8
; %bb.7:
	v_lshrrev_b32_e32 v3, 4, v0
	v_and_b32_e32 v3, 12, v3
	ds_write_b32 v3, v2
.LBB17_8:
	s_or_b64 exec, exec, s[2:3]
	v_cmp_eq_u32_e32 vcc, 0, v0
	s_waitcnt lgkmcnt(0)
	s_barrier
	s_and_saveexec_b64 s[2:3], vcc
	s_cbranch_execz .LBB17_10
; %bb.9:
	v_mov_b32_e32 v3, 0
	ds_read2_b32 v[4:5], v3 offset0:1 offset1:2
	ds_read_b32 v6, v3 offset:12
	s_waitcnt lgkmcnt(1)
	v_add_f32_e32 v2, v2, v4
	v_add_f32_e32 v2, v2, v5
	s_waitcnt lgkmcnt(0)
	v_add_f32_e32 v2, v2, v6
	ds_write_b32 v3, v2
.LBB17_10:
	s_or_b64 exec, exec, s[2:3]
	s_waitcnt lgkmcnt(0)
	s_barrier
	s_and_saveexec_b64 s[8:9], vcc
	s_cbranch_execz .LBB17_20
; %bb.11:
	s_load_dwordx4 s[28:31], s[4:5], 0x58
	s_lshl_b64 s[2:3], s[24:25], 2
	s_add_u32 s4, s10, s2
	s_addc_u32 s5, s11, s3
	v_mov_b32_e32 v2, 0
	s_waitcnt lgkmcnt(0)
	s_mul_i32 s2, s22, s31
	s_mul_hi_u32 s3, s22, s30
	s_add_i32 s3, s3, s2
	s_mul_i32 s2, s22, s30
	ds_read_b32 v3, v2
	s_lshl_b64 s[2:3], s[2:3], 2
	s_add_u32 s10, s28, s2
	s_addc_u32 s11, s29, s3
	s_cmp_eq_u64 s[20:21], 0
	s_cselect_b64 s[2:3], -1, 0
	s_cmp_lg_u64 s[20:21], 0
	s_waitcnt lgkmcnt(0)
	v_cmp_nlt_f32_e32 vcc, 0, v3
	s_mov_b64 s[22:23], 0
	s_cselect_b64 s[12:13], -1, 0
	s_cbranch_vccz .LBB17_14
; %bb.12:
	v_mov_b32_e32 v4, 1.0
	s_mov_b64 s[26:27], 0
	s_and_b64 vcc, exec, s[12:13]
	ds_write_b32 v2, v4
	global_store_dword v2, v2, s[10:11]
	s_cbranch_vccz .LBB17_15
; %bb.13:
	v_mov_b32_e32 v2, 0
	global_load_dword v2, v2, s[4:5]
	s_mov_b64 s[24:25], -1
	s_and_b64 vcc, exec, s[26:27]
	s_cbranch_vccnz .LBB17_16
	s_branch .LBB17_17
.LBB17_14:
	s_mov_b64 s[26:27], -1
.LBB17_15:
	s_mov_b64 s[24:25], 0
                                        ; implicit-def: $vgpr2
	s_and_b64 vcc, exec, s[26:27]
	s_cbranch_vccz .LBB17_17
.LBB17_16:
	v_mov_b32_e32 v4, 0
	global_load_dword v5, v4, s[4:5]
	s_mov_b32 s22, 0xf800000
	v_mov_b32_e32 v6, 0x260
	s_mov_b64 s[24:25], s[12:13]
	s_waitcnt vmcnt(0)
	v_fmac_f32_e32 v3, v5, v5
	v_mul_f32_e32 v2, 0x4f800000, v3
	v_cmp_gt_f32_e32 vcc, s22, v3
	v_cndmask_b32_e32 v2, v3, v2, vcc
	v_sqrt_f32_e32 v3, v2
	s_mov_b64 s[22:23], s[2:3]
	v_add_u32_e32 v7, -1, v3
	v_add_u32_e32 v8, 1, v3
	v_fma_f32 v9, -v7, v3, v2
	v_fma_f32 v10, -v8, v3, v2
	v_cmp_ge_f32_e64 s[2:3], 0, v9
	v_cndmask_b32_e64 v3, v3, v7, s[2:3]
	v_cmp_lt_f32_e64 s[2:3], 0, v10
	v_cndmask_b32_e64 v3, v3, v8, s[2:3]
	v_mul_f32_e32 v7, 0x37800000, v3
	v_cndmask_b32_e32 v3, v3, v7, vcc
	v_cmp_class_f32_e32 vcc, v2, v6
	v_cndmask_b32_e32 v2, v3, v2, vcc
	v_cmp_le_f32_e32 vcc, 0, v5
	v_cndmask_b32_e64 v2, v2, -v2, vcc
	v_sub_f32_e32 v3, v5, v2
	v_sub_f32_e32 v5, v2, v5
	v_div_scale_f32 v6, s[2:3], v3, v3, 1.0
	v_div_scale_f32 v8, s[2:3], v2, v2, v5
	v_rcp_f32_e32 v9, v6
	v_rcp_f32_e32 v10, v8
	v_div_scale_f32 v7, vcc, 1.0, v3, 1.0
	v_fma_f32 v12, -v6, v9, 1.0
	v_fma_f32 v13, -v8, v10, 1.0
	v_fmac_f32_e32 v9, v12, v9
	v_div_scale_f32 v11, s[2:3], v5, v2, v5
	v_fmac_f32_e32 v10, v13, v10
	v_mul_f32_e32 v12, v7, v9
	v_mul_f32_e32 v13, v11, v10
	v_fma_f32 v14, -v6, v12, v7
	v_fma_f32 v15, -v8, v13, v11
	v_fmac_f32_e32 v12, v14, v9
	v_fmac_f32_e32 v13, v15, v10
	v_fma_f32 v6, -v6, v12, v7
	v_fma_f32 v7, -v8, v13, v11
	v_div_fmas_f32 v6, v6, v9, v12
	s_mov_b64 vcc, s[2:3]
	v_div_fixup_f32 v3, v6, v3, 1.0
	v_div_fmas_f32 v6, v7, v10, v13
	ds_write_b32 v4, v3
	v_div_fixup_f32 v3, v6, v2, v5
	global_store_dword v4, v3, s[10:11]
.LBB17_17:
	s_andn2_b64 vcc, exec, s[24:25]
	s_cbranch_vccz .LBB17_24
; %bb.18:
	s_andn2_b64 vcc, exec, s[22:23]
	s_cbranch_vccnz .LBB17_20
.LBB17_19:
	v_mov_b32_e32 v3, 0
	s_waitcnt vmcnt(0)
	global_store_dword v3, v2, s[4:5]
.LBB17_20:
	s_or_b64 exec, exec, s[8:9]
	s_waitcnt lgkmcnt(0)
	s_barrier
	s_and_saveexec_b64 s[2:3], s[0:1]
	s_cbranch_execz .LBB17_23
; %bb.21:
	s_waitcnt vmcnt(0)
	v_mov_b32_e32 v2, 0
	ds_read_b32 v4, v2
	v_mad_u64_u32 v[2:3], s[0:1], s18, v0, 0
	v_mov_b32_e32 v6, v3
	v_mad_u64_u32 v[6:7], s[0:1], s19, v0, v[6:7]
	s_lshl_b64 s[0:1], s[16:17], 2
	v_mov_b32_e32 v3, v6
	s_add_u32 s0, s14, s0
	v_lshlrev_b64 v[2:3], 2, v[2:3]
	s_addc_u32 s1, s15, s1
	v_mov_b32_e32 v5, s1
	v_add_co_u32_e32 v2, vcc, s0, v2
	s_lshl_b64 s[0:1], s[18:19], 10
	v_addc_co_u32_e32 v3, vcc, v5, v3, vcc
	s_mov_b64 s[2:3], 0
	v_mov_b32_e32 v5, s1
.LBB17_22:                              ; =>This Inner Loop Header: Depth=1
	global_load_dword v6, v[2:3], off
	v_add_co_u32_e32 v0, vcc, 0x100, v0
	v_addc_co_u32_e32 v1, vcc, 0, v1, vcc
	v_cmp_le_i64_e32 vcc, s[6:7], v[0:1]
	s_or_b64 s[2:3], vcc, s[2:3]
	s_waitcnt vmcnt(0) lgkmcnt(0)
	v_mul_f32_e32 v6, v4, v6
	global_store_dword v[2:3], v6, off
	v_add_co_u32_e32 v2, vcc, s0, v2
	v_addc_co_u32_e32 v3, vcc, v3, v5, vcc
	s_andn2_b64 exec, exec, s[2:3]
	s_cbranch_execnz .LBB17_22
.LBB17_23:
	s_endpgm
.LBB17_24:
	v_pk_mov_b32 v[4:5], s[20:21], s[20:21] op_sel:[0,1]
	s_waitcnt vmcnt(0)
	flat_store_dword v[4:5], v2
	v_mov_b32_e32 v2, 1.0
	s_branch .LBB17_19
	.section	.rodata,"a",@progbits
	.p2align	6, 0x0
	.amdhsa_kernel _ZN9rocsolver6v33100L18larfg_kernel_smallILi256EflfPKPfEEvT1_T3_llPT2_llS6_lS5_lPT0_l
		.amdhsa_group_segment_fixed_size 16
		.amdhsa_private_segment_fixed_size 0
		.amdhsa_kernarg_size 104
		.amdhsa_user_sgpr_count 6
		.amdhsa_user_sgpr_private_segment_buffer 1
		.amdhsa_user_sgpr_dispatch_ptr 0
		.amdhsa_user_sgpr_queue_ptr 0
		.amdhsa_user_sgpr_kernarg_segment_ptr 1
		.amdhsa_user_sgpr_dispatch_id 0
		.amdhsa_user_sgpr_flat_scratch_init 0
		.amdhsa_user_sgpr_kernarg_preload_length 0
		.amdhsa_user_sgpr_kernarg_preload_offset 0
		.amdhsa_user_sgpr_private_segment_size 0
		.amdhsa_uses_dynamic_stack 0
		.amdhsa_system_sgpr_private_segment_wavefront_offset 0
		.amdhsa_system_sgpr_workgroup_id_x 1
		.amdhsa_system_sgpr_workgroup_id_y 0
		.amdhsa_system_sgpr_workgroup_id_z 1
		.amdhsa_system_sgpr_workgroup_info 0
		.amdhsa_system_vgpr_workitem_id 0
		.amdhsa_next_free_vgpr 16
		.amdhsa_next_free_sgpr 32
		.amdhsa_accum_offset 16
		.amdhsa_reserve_vcc 1
		.amdhsa_reserve_flat_scratch 0
		.amdhsa_float_round_mode_32 0
		.amdhsa_float_round_mode_16_64 0
		.amdhsa_float_denorm_mode_32 3
		.amdhsa_float_denorm_mode_16_64 3
		.amdhsa_dx10_clamp 1
		.amdhsa_ieee_mode 1
		.amdhsa_fp16_overflow 0
		.amdhsa_tg_split 0
		.amdhsa_exception_fp_ieee_invalid_op 0
		.amdhsa_exception_fp_denorm_src 0
		.amdhsa_exception_fp_ieee_div_zero 0
		.amdhsa_exception_fp_ieee_overflow 0
		.amdhsa_exception_fp_ieee_underflow 0
		.amdhsa_exception_fp_ieee_inexact 0
		.amdhsa_exception_int_div_zero 0
	.end_amdhsa_kernel
	.section	.text._ZN9rocsolver6v33100L18larfg_kernel_smallILi256EflfPKPfEEvT1_T3_llPT2_llS6_lS5_lPT0_l,"axG",@progbits,_ZN9rocsolver6v33100L18larfg_kernel_smallILi256EflfPKPfEEvT1_T3_llPT2_llS6_lS5_lPT0_l,comdat
.Lfunc_end17:
	.size	_ZN9rocsolver6v33100L18larfg_kernel_smallILi256EflfPKPfEEvT1_T3_llPT2_llS6_lS5_lPT0_l, .Lfunc_end17-_ZN9rocsolver6v33100L18larfg_kernel_smallILi256EflfPKPfEEvT1_T3_llPT2_llS6_lS5_lPT0_l
                                        ; -- End function
	.section	.AMDGPU.csdata,"",@progbits
; Kernel info:
; codeLenInByte = 1420
; NumSgprs: 36
; NumVgprs: 16
; NumAgprs: 0
; TotalNumVgprs: 16
; ScratchSize: 0
; MemoryBound: 0
; FloatMode: 240
; IeeeMode: 1
; LDSByteSize: 16 bytes/workgroup (compile time only)
; SGPRBlocks: 4
; VGPRBlocks: 1
; NumSGPRsForWavesPerEU: 36
; NumVGPRsForWavesPerEU: 16
; AccumOffset: 16
; Occupancy: 8
; WaveLimiterHint : 1
; COMPUTE_PGM_RSRC2:SCRATCH_EN: 0
; COMPUTE_PGM_RSRC2:USER_SGPR: 6
; COMPUTE_PGM_RSRC2:TRAP_HANDLER: 0
; COMPUTE_PGM_RSRC2:TGID_X_EN: 1
; COMPUTE_PGM_RSRC2:TGID_Y_EN: 0
; COMPUTE_PGM_RSRC2:TGID_Z_EN: 1
; COMPUTE_PGM_RSRC2:TIDIG_COMP_CNT: 0
; COMPUTE_PGM_RSRC3_GFX90A:ACCUM_OFFSET: 3
; COMPUTE_PGM_RSRC3_GFX90A:TG_SPLIT: 0
	.section	.text._ZN9rocsolver6v33100L18larfg_kernel_smallILi512EflfPKPfEEvT1_T3_llPT2_llS6_lS5_lPT0_l,"axG",@progbits,_ZN9rocsolver6v33100L18larfg_kernel_smallILi512EflfPKPfEEvT1_T3_llPT2_llS6_lS5_lPT0_l,comdat
	.globl	_ZN9rocsolver6v33100L18larfg_kernel_smallILi512EflfPKPfEEvT1_T3_llPT2_llS6_lS5_lPT0_l ; -- Begin function _ZN9rocsolver6v33100L18larfg_kernel_smallILi512EflfPKPfEEvT1_T3_llPT2_llS6_lS5_lPT0_l
	.p2align	8
	.type	_ZN9rocsolver6v33100L18larfg_kernel_smallILi512EflfPKPfEEvT1_T3_llPT2_llS6_lS5_lPT0_l,@function
_ZN9rocsolver6v33100L18larfg_kernel_smallILi512EflfPKPfEEvT1_T3_llPT2_llS6_lS5_lPT0_l: ; @_ZN9rocsolver6v33100L18larfg_kernel_smallILi512EflfPKPfEEvT1_T3_llPT2_llS6_lS5_lPT0_l
; %bb.0:
	s_mov_b32 s22, s7
	s_load_dwordx4 s[0:3], s[4:5], 0x0
	s_load_dwordx2 s[24:25], s[4:5], 0x10
	s_load_dwordx8 s[8:15], s[4:5], 0x20
	s_load_dwordx4 s[16:19], s[4:5], 0x40
	s_mov_b32 s23, 0
	s_lshl_b64 s[6:7], s[22:23], 3
	s_waitcnt lgkmcnt(0)
	s_add_u32 s2, s2, s6
	s_addc_u32 s3, s3, s7
	s_add_u32 s6, s14, s6
	s_addc_u32 s7, s15, s7
	s_load_dwordx2 s[14:15], s[6:7], 0x0
	s_cmp_eq_u64 s[8:9], 0
	s_mov_b64 s[20:21], 0
	s_cbranch_scc1 .LBB18_2
; %bb.1:
	s_mul_i32 s6, s22, s13
	s_mul_hi_u32 s7, s22, s12
	s_add_i32 s7, s7, s6
	s_mul_i32 s6, s22, s12
	s_lshl_b64 s[6:7], s[6:7], 2
	s_add_u32 s8, s8, s6
	s_addc_u32 s9, s9, s7
	s_lshl_b64 s[6:7], s[10:11], 2
	s_add_u32 s20, s8, s6
	s_addc_u32 s21, s9, s7
.LBB18_2:
	s_load_dwordx2 s[10:11], s[2:3], 0x0
	s_add_u32 s6, s0, -1
	v_mov_b32_e32 v1, 0
	s_addc_u32 s7, s1, -1
	v_cmp_gt_i64_e64 s[0:1], s[6:7], v[0:1]
	v_mov_b32_e32 v6, v1
	s_and_saveexec_b64 s[8:9], s[0:1]
	s_cbranch_execz .LBB18_6
; %bb.3:
	v_mad_u64_u32 v[2:3], s[2:3], s18, v0, 0
	v_mov_b32_e32 v4, v3
	v_mad_u64_u32 v[4:5], s[2:3], s19, v0, v[4:5]
	s_lshl_b64 s[2:3], s[16:17], 2
	v_mov_b32_e32 v3, v4
	s_waitcnt lgkmcnt(0)
	s_add_u32 s2, s14, s2
	v_lshlrev_b64 v[2:3], 2, v[2:3]
	s_addc_u32 s3, s15, s3
	v_mov_b32_e32 v4, s3
	v_add_co_u32_e32 v2, vcc, s2, v2
	s_lshl_b64 s[26:27], s[18:19], 11
	v_addc_co_u32_e32 v3, vcc, v4, v3, vcc
	s_mov_b64 s[12:13], 0
	v_mov_b32_e32 v6, 0
	v_mov_b32_e32 v7, s27
	v_pk_mov_b32 v[4:5], v[0:1], v[0:1] op_sel:[0,1]
.LBB18_4:                               ; =>This Inner Loop Header: Depth=1
	global_load_dword v8, v[2:3], off
	v_add_co_u32_e32 v4, vcc, 0x200, v4
	v_addc_co_u32_e32 v5, vcc, 0, v5, vcc
	v_add_co_u32_e64 v2, s[2:3], s26, v2
	v_cmp_le_i64_e32 vcc, s[6:7], v[4:5]
	v_addc_co_u32_e64 v3, s[2:3], v3, v7, s[2:3]
	s_or_b64 s[12:13], vcc, s[12:13]
	s_waitcnt vmcnt(0)
	v_mul_f32_e32 v8, v8, v8
	v_add_f32_e32 v6, v6, v8
	s_andn2_b64 exec, exec, s[12:13]
	s_cbranch_execnz .LBB18_4
; %bb.5:
	s_or_b64 exec, exec, s[12:13]
.LBB18_6:
	s_or_b64 exec, exec, s[8:9]
	v_mbcnt_lo_u32_b32 v2, -1, 0
	v_mbcnt_hi_u32_b32 v2, -1, v2
	v_and_b32_e32 v3, 63, v2
	v_cmp_ne_u32_e32 vcc, 63, v3
	v_addc_co_u32_e32 v4, vcc, 0, v2, vcc
	v_lshlrev_b32_e32 v4, 2, v4
	ds_bpermute_b32 v4, v4, v6
	v_cmp_gt_u32_e32 vcc, 62, v3
	v_cndmask_b32_e64 v5, 0, 1, vcc
	v_lshlrev_b32_e32 v5, 1, v5
	v_add_lshl_u32 v5, v5, v2, 2
	s_waitcnt lgkmcnt(0)
	v_add_f32_e32 v4, v6, v4
	ds_bpermute_b32 v5, v5, v4
	v_cmp_gt_u32_e32 vcc, 60, v3
	v_cndmask_b32_e64 v6, 0, 1, vcc
	v_cmp_gt_u32_e32 vcc, 56, v3
	s_waitcnt lgkmcnt(0)
	v_add_f32_e32 v4, v4, v5
	v_lshlrev_b32_e32 v5, 2, v6
	v_add_lshl_u32 v5, v5, v2, 2
	ds_bpermute_b32 v5, v5, v4
	v_cndmask_b32_e64 v6, 0, 1, vcc
	v_cmp_gt_u32_e32 vcc, 48, v3
	s_waitcnt lgkmcnt(0)
	v_add_f32_e32 v4, v4, v5
	v_lshlrev_b32_e32 v5, 3, v6
	v_add_lshl_u32 v5, v5, v2, 2
	ds_bpermute_b32 v5, v5, v4
	v_cndmask_b32_e64 v6, 0, 1, vcc
	v_cmp_gt_u32_e32 vcc, 32, v3
	v_cndmask_b32_e64 v3, 0, 1, vcc
	v_lshlrev_b32_e32 v3, 5, v3
	s_waitcnt lgkmcnt(0)
	v_add_f32_e32 v4, v4, v5
	v_lshlrev_b32_e32 v5, 4, v6
	v_add_lshl_u32 v5, v5, v2, 2
	ds_bpermute_b32 v5, v5, v4
	v_add_lshl_u32 v2, v3, v2, 2
	s_waitcnt lgkmcnt(0)
	v_add_f32_e32 v6, v4, v5
	ds_bpermute_b32 v2, v2, v6
	v_mov_b32_e32 v5, 0
	v_and_b32_e32 v4, 63, v0
	v_cmp_eq_u64_e32 vcc, 0, v[4:5]
	s_waitcnt lgkmcnt(0)
	v_add_f32_e32 v2, v6, v2
	s_and_saveexec_b64 s[2:3], vcc
	s_cbranch_execz .LBB18_8
; %bb.7:
	v_lshrrev_b32_e32 v3, 4, v0
	v_and_b32_e32 v3, 28, v3
	ds_write_b32 v3, v2
.LBB18_8:
	s_or_b64 exec, exec, s[2:3]
	v_cmp_eq_u32_e32 vcc, 0, v0
	s_waitcnt lgkmcnt(0)
	s_barrier
	s_and_saveexec_b64 s[2:3], vcc
	s_cbranch_execz .LBB18_10
; %bb.9:
	v_mov_b32_e32 v3, 0
	ds_read2_b32 v[4:5], v3 offset0:1 offset1:2
	ds_read2_b32 v[6:7], v3 offset0:3 offset1:4
	;; [unrolled: 1-line block ×3, first 2 shown]
	ds_read_b32 v10, v3 offset:28
	s_waitcnt lgkmcnt(3)
	v_add_f32_e32 v2, v2, v4
	v_add_f32_e32 v2, v2, v5
	s_waitcnt lgkmcnt(2)
	v_add_f32_e32 v2, v2, v6
	v_add_f32_e32 v2, v2, v7
	;; [unrolled: 3-line block ×3, first 2 shown]
	s_waitcnt lgkmcnt(0)
	v_add_f32_e32 v2, v2, v10
	ds_write_b32 v3, v2
.LBB18_10:
	s_or_b64 exec, exec, s[2:3]
	s_waitcnt lgkmcnt(0)
	s_barrier
	s_and_saveexec_b64 s[8:9], vcc
	s_cbranch_execz .LBB18_20
; %bb.11:
	s_load_dwordx4 s[28:31], s[4:5], 0x58
	s_lshl_b64 s[2:3], s[24:25], 2
	s_add_u32 s4, s10, s2
	s_addc_u32 s5, s11, s3
	v_mov_b32_e32 v2, 0
	s_waitcnt lgkmcnt(0)
	s_mul_i32 s2, s22, s31
	s_mul_hi_u32 s3, s22, s30
	s_add_i32 s3, s3, s2
	s_mul_i32 s2, s22, s30
	ds_read_b32 v3, v2
	s_lshl_b64 s[2:3], s[2:3], 2
	s_add_u32 s10, s28, s2
	s_addc_u32 s11, s29, s3
	s_cmp_eq_u64 s[20:21], 0
	s_cselect_b64 s[2:3], -1, 0
	s_cmp_lg_u64 s[20:21], 0
	s_waitcnt lgkmcnt(0)
	v_cmp_nlt_f32_e32 vcc, 0, v3
	s_mov_b64 s[22:23], 0
	s_cselect_b64 s[12:13], -1, 0
	s_cbranch_vccz .LBB18_14
; %bb.12:
	v_mov_b32_e32 v4, 1.0
	s_mov_b64 s[26:27], 0
	s_and_b64 vcc, exec, s[12:13]
	ds_write_b32 v2, v4
	global_store_dword v2, v2, s[10:11]
	s_cbranch_vccz .LBB18_15
; %bb.13:
	v_mov_b32_e32 v2, 0
	global_load_dword v2, v2, s[4:5]
	s_mov_b64 s[24:25], -1
	s_and_b64 vcc, exec, s[26:27]
	s_cbranch_vccnz .LBB18_16
	s_branch .LBB18_17
.LBB18_14:
	s_mov_b64 s[26:27], -1
.LBB18_15:
	s_mov_b64 s[24:25], 0
                                        ; implicit-def: $vgpr2
	s_and_b64 vcc, exec, s[26:27]
	s_cbranch_vccz .LBB18_17
.LBB18_16:
	v_mov_b32_e32 v4, 0
	global_load_dword v5, v4, s[4:5]
	s_mov_b32 s22, 0xf800000
	v_mov_b32_e32 v6, 0x260
	s_mov_b64 s[24:25], s[12:13]
	s_waitcnt vmcnt(0)
	v_fmac_f32_e32 v3, v5, v5
	v_mul_f32_e32 v2, 0x4f800000, v3
	v_cmp_gt_f32_e32 vcc, s22, v3
	v_cndmask_b32_e32 v2, v3, v2, vcc
	v_sqrt_f32_e32 v3, v2
	s_mov_b64 s[22:23], s[2:3]
	v_add_u32_e32 v7, -1, v3
	v_add_u32_e32 v8, 1, v3
	v_fma_f32 v9, -v7, v3, v2
	v_fma_f32 v10, -v8, v3, v2
	v_cmp_ge_f32_e64 s[2:3], 0, v9
	v_cndmask_b32_e64 v3, v3, v7, s[2:3]
	v_cmp_lt_f32_e64 s[2:3], 0, v10
	v_cndmask_b32_e64 v3, v3, v8, s[2:3]
	v_mul_f32_e32 v7, 0x37800000, v3
	v_cndmask_b32_e32 v3, v3, v7, vcc
	v_cmp_class_f32_e32 vcc, v2, v6
	v_cndmask_b32_e32 v2, v3, v2, vcc
	v_cmp_le_f32_e32 vcc, 0, v5
	v_cndmask_b32_e64 v2, v2, -v2, vcc
	v_sub_f32_e32 v3, v5, v2
	v_sub_f32_e32 v5, v2, v5
	v_div_scale_f32 v6, s[2:3], v3, v3, 1.0
	v_div_scale_f32 v8, s[2:3], v2, v2, v5
	v_rcp_f32_e32 v9, v6
	v_rcp_f32_e32 v10, v8
	v_div_scale_f32 v7, vcc, 1.0, v3, 1.0
	v_fma_f32 v12, -v6, v9, 1.0
	v_fma_f32 v13, -v8, v10, 1.0
	v_fmac_f32_e32 v9, v12, v9
	v_div_scale_f32 v11, s[2:3], v5, v2, v5
	v_fmac_f32_e32 v10, v13, v10
	v_mul_f32_e32 v12, v7, v9
	v_mul_f32_e32 v13, v11, v10
	v_fma_f32 v14, -v6, v12, v7
	v_fma_f32 v15, -v8, v13, v11
	v_fmac_f32_e32 v12, v14, v9
	v_fmac_f32_e32 v13, v15, v10
	v_fma_f32 v6, -v6, v12, v7
	v_fma_f32 v7, -v8, v13, v11
	v_div_fmas_f32 v6, v6, v9, v12
	s_mov_b64 vcc, s[2:3]
	v_div_fixup_f32 v3, v6, v3, 1.0
	v_div_fmas_f32 v6, v7, v10, v13
	ds_write_b32 v4, v3
	v_div_fixup_f32 v3, v6, v2, v5
	global_store_dword v4, v3, s[10:11]
.LBB18_17:
	s_andn2_b64 vcc, exec, s[24:25]
	s_cbranch_vccz .LBB18_24
; %bb.18:
	s_andn2_b64 vcc, exec, s[22:23]
	s_cbranch_vccnz .LBB18_20
.LBB18_19:
	v_mov_b32_e32 v3, 0
	s_waitcnt vmcnt(0)
	global_store_dword v3, v2, s[4:5]
.LBB18_20:
	s_or_b64 exec, exec, s[8:9]
	s_waitcnt lgkmcnt(0)
	s_barrier
	s_and_saveexec_b64 s[2:3], s[0:1]
	s_cbranch_execz .LBB18_23
; %bb.21:
	s_waitcnt vmcnt(0)
	v_mov_b32_e32 v2, 0
	ds_read_b32 v4, v2
	v_mad_u64_u32 v[2:3], s[0:1], s18, v0, 0
	v_mov_b32_e32 v6, v3
	v_mad_u64_u32 v[6:7], s[0:1], s19, v0, v[6:7]
	s_lshl_b64 s[0:1], s[16:17], 2
	v_mov_b32_e32 v3, v6
	s_add_u32 s0, s14, s0
	v_lshlrev_b64 v[2:3], 2, v[2:3]
	s_addc_u32 s1, s15, s1
	v_mov_b32_e32 v5, s1
	v_add_co_u32_e32 v2, vcc, s0, v2
	s_lshl_b64 s[0:1], s[18:19], 11
	v_addc_co_u32_e32 v3, vcc, v5, v3, vcc
	s_mov_b64 s[2:3], 0
	v_mov_b32_e32 v5, s1
.LBB18_22:                              ; =>This Inner Loop Header: Depth=1
	global_load_dword v6, v[2:3], off
	v_add_co_u32_e32 v0, vcc, 0x200, v0
	v_addc_co_u32_e32 v1, vcc, 0, v1, vcc
	v_cmp_le_i64_e32 vcc, s[6:7], v[0:1]
	s_or_b64 s[2:3], vcc, s[2:3]
	s_waitcnt vmcnt(0) lgkmcnt(0)
	v_mul_f32_e32 v6, v4, v6
	global_store_dword v[2:3], v6, off
	v_add_co_u32_e32 v2, vcc, s0, v2
	v_addc_co_u32_e32 v3, vcc, v3, v5, vcc
	s_andn2_b64 exec, exec, s[2:3]
	s_cbranch_execnz .LBB18_22
.LBB18_23:
	s_endpgm
.LBB18_24:
	v_pk_mov_b32 v[4:5], s[20:21], s[20:21] op_sel:[0,1]
	s_waitcnt vmcnt(0)
	flat_store_dword v[4:5], v2
	v_mov_b32_e32 v2, 1.0
	s_branch .LBB18_19
	.section	.rodata,"a",@progbits
	.p2align	6, 0x0
	.amdhsa_kernel _ZN9rocsolver6v33100L18larfg_kernel_smallILi512EflfPKPfEEvT1_T3_llPT2_llS6_lS5_lPT0_l
		.amdhsa_group_segment_fixed_size 32
		.amdhsa_private_segment_fixed_size 0
		.amdhsa_kernarg_size 104
		.amdhsa_user_sgpr_count 6
		.amdhsa_user_sgpr_private_segment_buffer 1
		.amdhsa_user_sgpr_dispatch_ptr 0
		.amdhsa_user_sgpr_queue_ptr 0
		.amdhsa_user_sgpr_kernarg_segment_ptr 1
		.amdhsa_user_sgpr_dispatch_id 0
		.amdhsa_user_sgpr_flat_scratch_init 0
		.amdhsa_user_sgpr_kernarg_preload_length 0
		.amdhsa_user_sgpr_kernarg_preload_offset 0
		.amdhsa_user_sgpr_private_segment_size 0
		.amdhsa_uses_dynamic_stack 0
		.amdhsa_system_sgpr_private_segment_wavefront_offset 0
		.amdhsa_system_sgpr_workgroup_id_x 1
		.amdhsa_system_sgpr_workgroup_id_y 0
		.amdhsa_system_sgpr_workgroup_id_z 1
		.amdhsa_system_sgpr_workgroup_info 0
		.amdhsa_system_vgpr_workitem_id 0
		.amdhsa_next_free_vgpr 16
		.amdhsa_next_free_sgpr 32
		.amdhsa_accum_offset 16
		.amdhsa_reserve_vcc 1
		.amdhsa_reserve_flat_scratch 0
		.amdhsa_float_round_mode_32 0
		.amdhsa_float_round_mode_16_64 0
		.amdhsa_float_denorm_mode_32 3
		.amdhsa_float_denorm_mode_16_64 3
		.amdhsa_dx10_clamp 1
		.amdhsa_ieee_mode 1
		.amdhsa_fp16_overflow 0
		.amdhsa_tg_split 0
		.amdhsa_exception_fp_ieee_invalid_op 0
		.amdhsa_exception_fp_denorm_src 0
		.amdhsa_exception_fp_ieee_div_zero 0
		.amdhsa_exception_fp_ieee_overflow 0
		.amdhsa_exception_fp_ieee_underflow 0
		.amdhsa_exception_fp_ieee_inexact 0
		.amdhsa_exception_int_div_zero 0
	.end_amdhsa_kernel
	.section	.text._ZN9rocsolver6v33100L18larfg_kernel_smallILi512EflfPKPfEEvT1_T3_llPT2_llS6_lS5_lPT0_l,"axG",@progbits,_ZN9rocsolver6v33100L18larfg_kernel_smallILi512EflfPKPfEEvT1_T3_llPT2_llS6_lS5_lPT0_l,comdat
.Lfunc_end18:
	.size	_ZN9rocsolver6v33100L18larfg_kernel_smallILi512EflfPKPfEEvT1_T3_llPT2_llS6_lS5_lPT0_l, .Lfunc_end18-_ZN9rocsolver6v33100L18larfg_kernel_smallILi512EflfPKPfEEvT1_T3_llPT2_llS6_lS5_lPT0_l
                                        ; -- End function
	.section	.AMDGPU.csdata,"",@progbits
; Kernel info:
; codeLenInByte = 1460
; NumSgprs: 36
; NumVgprs: 16
; NumAgprs: 0
; TotalNumVgprs: 16
; ScratchSize: 0
; MemoryBound: 0
; FloatMode: 240
; IeeeMode: 1
; LDSByteSize: 32 bytes/workgroup (compile time only)
; SGPRBlocks: 4
; VGPRBlocks: 1
; NumSGPRsForWavesPerEU: 36
; NumVGPRsForWavesPerEU: 16
; AccumOffset: 16
; Occupancy: 8
; WaveLimiterHint : 1
; COMPUTE_PGM_RSRC2:SCRATCH_EN: 0
; COMPUTE_PGM_RSRC2:USER_SGPR: 6
; COMPUTE_PGM_RSRC2:TRAP_HANDLER: 0
; COMPUTE_PGM_RSRC2:TGID_X_EN: 1
; COMPUTE_PGM_RSRC2:TGID_Y_EN: 0
; COMPUTE_PGM_RSRC2:TGID_Z_EN: 1
; COMPUTE_PGM_RSRC2:TIDIG_COMP_CNT: 0
; COMPUTE_PGM_RSRC3_GFX90A:ACCUM_OFFSET: 3
; COMPUTE_PGM_RSRC3_GFX90A:TG_SPLIT: 0
	.section	.text._ZN9rocsolver6v33100L18larfg_kernel_smallILi1024EflfPKPfEEvT1_T3_llPT2_llS6_lS5_lPT0_l,"axG",@progbits,_ZN9rocsolver6v33100L18larfg_kernel_smallILi1024EflfPKPfEEvT1_T3_llPT2_llS6_lS5_lPT0_l,comdat
	.globl	_ZN9rocsolver6v33100L18larfg_kernel_smallILi1024EflfPKPfEEvT1_T3_llPT2_llS6_lS5_lPT0_l ; -- Begin function _ZN9rocsolver6v33100L18larfg_kernel_smallILi1024EflfPKPfEEvT1_T3_llPT2_llS6_lS5_lPT0_l
	.p2align	8
	.type	_ZN9rocsolver6v33100L18larfg_kernel_smallILi1024EflfPKPfEEvT1_T3_llPT2_llS6_lS5_lPT0_l,@function
_ZN9rocsolver6v33100L18larfg_kernel_smallILi1024EflfPKPfEEvT1_T3_llPT2_llS6_lS5_lPT0_l: ; @_ZN9rocsolver6v33100L18larfg_kernel_smallILi1024EflfPKPfEEvT1_T3_llPT2_llS6_lS5_lPT0_l
; %bb.0:
	s_mov_b32 s22, s7
	s_load_dwordx4 s[0:3], s[4:5], 0x0
	s_load_dwordx2 s[24:25], s[4:5], 0x10
	s_load_dwordx8 s[8:15], s[4:5], 0x20
	s_load_dwordx4 s[16:19], s[4:5], 0x40
	s_mov_b32 s23, 0
	s_lshl_b64 s[6:7], s[22:23], 3
	s_waitcnt lgkmcnt(0)
	s_add_u32 s2, s2, s6
	s_addc_u32 s3, s3, s7
	s_add_u32 s6, s14, s6
	s_addc_u32 s7, s15, s7
	s_load_dwordx2 s[14:15], s[6:7], 0x0
	s_cmp_eq_u64 s[8:9], 0
	s_mov_b64 s[20:21], 0
	s_cbranch_scc1 .LBB19_2
; %bb.1:
	s_mul_i32 s6, s22, s13
	s_mul_hi_u32 s7, s22, s12
	s_add_i32 s7, s7, s6
	s_mul_i32 s6, s22, s12
	s_lshl_b64 s[6:7], s[6:7], 2
	s_add_u32 s8, s8, s6
	s_addc_u32 s9, s9, s7
	s_lshl_b64 s[6:7], s[10:11], 2
	s_add_u32 s20, s8, s6
	s_addc_u32 s21, s9, s7
.LBB19_2:
	s_load_dwordx2 s[10:11], s[2:3], 0x0
	s_add_u32 s6, s0, -1
	v_mov_b32_e32 v1, 0
	s_addc_u32 s7, s1, -1
	v_cmp_gt_i64_e64 s[0:1], s[6:7], v[0:1]
	v_mov_b32_e32 v6, v1
	s_and_saveexec_b64 s[8:9], s[0:1]
	s_cbranch_execz .LBB19_6
; %bb.3:
	v_mad_u64_u32 v[2:3], s[2:3], s18, v0, 0
	v_mov_b32_e32 v4, v3
	v_mad_u64_u32 v[4:5], s[2:3], s19, v0, v[4:5]
	s_lshl_b64 s[2:3], s[16:17], 2
	v_mov_b32_e32 v3, v4
	s_waitcnt lgkmcnt(0)
	s_add_u32 s2, s14, s2
	v_lshlrev_b64 v[2:3], 2, v[2:3]
	s_addc_u32 s3, s15, s3
	v_mov_b32_e32 v4, s3
	v_add_co_u32_e32 v2, vcc, s2, v2
	s_lshl_b64 s[26:27], s[18:19], 12
	v_addc_co_u32_e32 v3, vcc, v4, v3, vcc
	s_mov_b64 s[12:13], 0
	v_mov_b32_e32 v6, 0
	v_mov_b32_e32 v7, s27
	v_pk_mov_b32 v[4:5], v[0:1], v[0:1] op_sel:[0,1]
.LBB19_4:                               ; =>This Inner Loop Header: Depth=1
	global_load_dword v8, v[2:3], off
	v_add_co_u32_e32 v4, vcc, 0x400, v4
	v_addc_co_u32_e32 v5, vcc, 0, v5, vcc
	v_add_co_u32_e64 v2, s[2:3], s26, v2
	v_cmp_le_i64_e32 vcc, s[6:7], v[4:5]
	v_addc_co_u32_e64 v3, s[2:3], v3, v7, s[2:3]
	s_or_b64 s[12:13], vcc, s[12:13]
	s_waitcnt vmcnt(0)
	v_mul_f32_e32 v8, v8, v8
	v_add_f32_e32 v6, v6, v8
	s_andn2_b64 exec, exec, s[12:13]
	s_cbranch_execnz .LBB19_4
; %bb.5:
	s_or_b64 exec, exec, s[12:13]
.LBB19_6:
	s_or_b64 exec, exec, s[8:9]
	v_mbcnt_lo_u32_b32 v2, -1, 0
	v_mbcnt_hi_u32_b32 v2, -1, v2
	v_and_b32_e32 v3, 63, v2
	v_cmp_ne_u32_e32 vcc, 63, v3
	v_addc_co_u32_e32 v4, vcc, 0, v2, vcc
	v_lshlrev_b32_e32 v4, 2, v4
	ds_bpermute_b32 v4, v4, v6
	v_cmp_gt_u32_e32 vcc, 62, v3
	v_cndmask_b32_e64 v5, 0, 1, vcc
	v_lshlrev_b32_e32 v5, 1, v5
	v_add_lshl_u32 v5, v5, v2, 2
	s_waitcnt lgkmcnt(0)
	v_add_f32_e32 v4, v6, v4
	ds_bpermute_b32 v5, v5, v4
	v_cmp_gt_u32_e32 vcc, 60, v3
	v_cndmask_b32_e64 v6, 0, 1, vcc
	v_cmp_gt_u32_e32 vcc, 56, v3
	s_waitcnt lgkmcnt(0)
	v_add_f32_e32 v4, v4, v5
	v_lshlrev_b32_e32 v5, 2, v6
	v_add_lshl_u32 v5, v5, v2, 2
	ds_bpermute_b32 v5, v5, v4
	v_cndmask_b32_e64 v6, 0, 1, vcc
	v_cmp_gt_u32_e32 vcc, 48, v3
	s_waitcnt lgkmcnt(0)
	v_add_f32_e32 v4, v4, v5
	v_lshlrev_b32_e32 v5, 3, v6
	v_add_lshl_u32 v5, v5, v2, 2
	ds_bpermute_b32 v5, v5, v4
	v_cndmask_b32_e64 v6, 0, 1, vcc
	v_cmp_gt_u32_e32 vcc, 32, v3
	v_cndmask_b32_e64 v3, 0, 1, vcc
	v_lshlrev_b32_e32 v3, 5, v3
	s_waitcnt lgkmcnt(0)
	v_add_f32_e32 v4, v4, v5
	v_lshlrev_b32_e32 v5, 4, v6
	v_add_lshl_u32 v5, v5, v2, 2
	ds_bpermute_b32 v5, v5, v4
	v_add_lshl_u32 v2, v3, v2, 2
	s_waitcnt lgkmcnt(0)
	v_add_f32_e32 v6, v4, v5
	ds_bpermute_b32 v2, v2, v6
	v_mov_b32_e32 v5, 0
	v_and_b32_e32 v4, 63, v0
	v_cmp_eq_u64_e32 vcc, 0, v[4:5]
	s_waitcnt lgkmcnt(0)
	v_add_f32_e32 v2, v6, v2
	s_and_saveexec_b64 s[2:3], vcc
	s_cbranch_execz .LBB19_8
; %bb.7:
	v_lshrrev_b32_e32 v3, 4, v0
	v_and_b32_e32 v3, 60, v3
	ds_write_b32 v3, v2
.LBB19_8:
	s_or_b64 exec, exec, s[2:3]
	v_cmp_eq_u32_e32 vcc, 0, v0
	s_waitcnt lgkmcnt(0)
	s_barrier
	s_and_saveexec_b64 s[2:3], vcc
	s_cbranch_execz .LBB19_10
; %bb.9:
	v_mov_b32_e32 v12, 0
	ds_read2_b32 v[4:5], v12 offset0:1 offset1:2
	ds_read2_b32 v[6:7], v12 offset0:3 offset1:4
	;; [unrolled: 1-line block ×4, first 2 shown]
	s_waitcnt lgkmcnt(3)
	v_add_f32_e32 v2, v2, v4
	v_add_f32_e32 v2, v2, v5
	s_waitcnt lgkmcnt(2)
	v_add_f32_e32 v2, v2, v6
	v_add_f32_e32 v2, v2, v7
	;; [unrolled: 3-line block ×3, first 2 shown]
	s_waitcnt lgkmcnt(0)
	v_add_f32_e32 v4, v2, v10
	ds_read2_b32 v[2:3], v12 offset0:9 offset1:10
	v_add_f32_e32 v8, v4, v11
	ds_read2_b32 v[4:5], v12 offset0:11 offset1:12
	ds_read2_b32 v[6:7], v12 offset0:13 offset1:14
	ds_read_b32 v9, v12 offset:60
	s_waitcnt lgkmcnt(3)
	v_add_f32_e32 v2, v8, v2
	v_add_f32_e32 v2, v2, v3
	s_waitcnt lgkmcnt(2)
	v_add_f32_e32 v2, v2, v4
	v_add_f32_e32 v2, v2, v5
	;; [unrolled: 3-line block ×3, first 2 shown]
	s_waitcnt lgkmcnt(0)
	v_add_f32_e32 v2, v2, v9
	ds_write_b32 v12, v2
.LBB19_10:
	s_or_b64 exec, exec, s[2:3]
	s_waitcnt lgkmcnt(0)
	s_barrier
	s_and_saveexec_b64 s[8:9], vcc
	s_cbranch_execz .LBB19_20
; %bb.11:
	s_load_dwordx4 s[28:31], s[4:5], 0x58
	s_lshl_b64 s[2:3], s[24:25], 2
	s_add_u32 s4, s10, s2
	s_addc_u32 s5, s11, s3
	v_mov_b32_e32 v2, 0
	s_waitcnt lgkmcnt(0)
	s_mul_i32 s2, s22, s31
	s_mul_hi_u32 s3, s22, s30
	s_add_i32 s3, s3, s2
	s_mul_i32 s2, s22, s30
	ds_read_b32 v3, v2
	s_lshl_b64 s[2:3], s[2:3], 2
	s_add_u32 s10, s28, s2
	s_addc_u32 s11, s29, s3
	s_cmp_eq_u64 s[20:21], 0
	s_cselect_b64 s[2:3], -1, 0
	s_cmp_lg_u64 s[20:21], 0
	s_waitcnt lgkmcnt(0)
	v_cmp_nlt_f32_e32 vcc, 0, v3
	s_mov_b64 s[22:23], 0
	s_cselect_b64 s[12:13], -1, 0
	s_cbranch_vccz .LBB19_14
; %bb.12:
	v_mov_b32_e32 v4, 1.0
	s_mov_b64 s[26:27], 0
	s_and_b64 vcc, exec, s[12:13]
	ds_write_b32 v2, v4
	global_store_dword v2, v2, s[10:11]
	s_cbranch_vccz .LBB19_15
; %bb.13:
	v_mov_b32_e32 v2, 0
	global_load_dword v2, v2, s[4:5]
	s_mov_b64 s[24:25], -1
	s_and_b64 vcc, exec, s[26:27]
	s_cbranch_vccnz .LBB19_16
	s_branch .LBB19_17
.LBB19_14:
	s_mov_b64 s[26:27], -1
.LBB19_15:
	s_mov_b64 s[24:25], 0
                                        ; implicit-def: $vgpr2
	s_and_b64 vcc, exec, s[26:27]
	s_cbranch_vccz .LBB19_17
.LBB19_16:
	v_mov_b32_e32 v4, 0
	global_load_dword v5, v4, s[4:5]
	s_mov_b32 s22, 0xf800000
	v_mov_b32_e32 v6, 0x260
	s_mov_b64 s[24:25], s[12:13]
	s_waitcnt vmcnt(0)
	v_fmac_f32_e32 v3, v5, v5
	v_mul_f32_e32 v2, 0x4f800000, v3
	v_cmp_gt_f32_e32 vcc, s22, v3
	v_cndmask_b32_e32 v2, v3, v2, vcc
	v_sqrt_f32_e32 v3, v2
	s_mov_b64 s[22:23], s[2:3]
	v_add_u32_e32 v7, -1, v3
	v_add_u32_e32 v8, 1, v3
	v_fma_f32 v9, -v7, v3, v2
	v_fma_f32 v10, -v8, v3, v2
	v_cmp_ge_f32_e64 s[2:3], 0, v9
	v_cndmask_b32_e64 v3, v3, v7, s[2:3]
	v_cmp_lt_f32_e64 s[2:3], 0, v10
	v_cndmask_b32_e64 v3, v3, v8, s[2:3]
	v_mul_f32_e32 v7, 0x37800000, v3
	v_cndmask_b32_e32 v3, v3, v7, vcc
	v_cmp_class_f32_e32 vcc, v2, v6
	v_cndmask_b32_e32 v2, v3, v2, vcc
	v_cmp_le_f32_e32 vcc, 0, v5
	v_cndmask_b32_e64 v2, v2, -v2, vcc
	v_sub_f32_e32 v3, v5, v2
	v_sub_f32_e32 v5, v2, v5
	v_div_scale_f32 v6, s[2:3], v3, v3, 1.0
	v_div_scale_f32 v8, s[2:3], v2, v2, v5
	v_rcp_f32_e32 v9, v6
	v_rcp_f32_e32 v10, v8
	v_div_scale_f32 v7, vcc, 1.0, v3, 1.0
	v_fma_f32 v12, -v6, v9, 1.0
	v_fma_f32 v13, -v8, v10, 1.0
	v_fmac_f32_e32 v9, v12, v9
	v_div_scale_f32 v11, s[2:3], v5, v2, v5
	v_fmac_f32_e32 v10, v13, v10
	v_mul_f32_e32 v12, v7, v9
	v_mul_f32_e32 v13, v11, v10
	v_fma_f32 v14, -v6, v12, v7
	v_fma_f32 v15, -v8, v13, v11
	v_fmac_f32_e32 v12, v14, v9
	v_fmac_f32_e32 v13, v15, v10
	v_fma_f32 v6, -v6, v12, v7
	v_fma_f32 v7, -v8, v13, v11
	v_div_fmas_f32 v6, v6, v9, v12
	s_mov_b64 vcc, s[2:3]
	v_div_fixup_f32 v3, v6, v3, 1.0
	v_div_fmas_f32 v6, v7, v10, v13
	ds_write_b32 v4, v3
	v_div_fixup_f32 v3, v6, v2, v5
	global_store_dword v4, v3, s[10:11]
.LBB19_17:
	s_andn2_b64 vcc, exec, s[24:25]
	s_cbranch_vccz .LBB19_24
; %bb.18:
	s_andn2_b64 vcc, exec, s[22:23]
	s_cbranch_vccnz .LBB19_20
.LBB19_19:
	v_mov_b32_e32 v3, 0
	s_waitcnt vmcnt(0)
	global_store_dword v3, v2, s[4:5]
.LBB19_20:
	s_or_b64 exec, exec, s[8:9]
	s_waitcnt lgkmcnt(0)
	s_barrier
	s_and_saveexec_b64 s[2:3], s[0:1]
	s_cbranch_execz .LBB19_23
; %bb.21:
	s_waitcnt vmcnt(0)
	v_mov_b32_e32 v2, 0
	ds_read_b32 v4, v2
	v_mad_u64_u32 v[2:3], s[0:1], s18, v0, 0
	v_mov_b32_e32 v6, v3
	v_mad_u64_u32 v[6:7], s[0:1], s19, v0, v[6:7]
	s_lshl_b64 s[0:1], s[16:17], 2
	v_mov_b32_e32 v3, v6
	s_add_u32 s0, s14, s0
	v_lshlrev_b64 v[2:3], 2, v[2:3]
	s_addc_u32 s1, s15, s1
	v_mov_b32_e32 v5, s1
	v_add_co_u32_e32 v2, vcc, s0, v2
	s_lshl_b64 s[0:1], s[18:19], 12
	v_addc_co_u32_e32 v3, vcc, v5, v3, vcc
	s_mov_b64 s[2:3], 0
	v_mov_b32_e32 v5, s1
.LBB19_22:                              ; =>This Inner Loop Header: Depth=1
	global_load_dword v6, v[2:3], off
	v_add_co_u32_e32 v0, vcc, 0x400, v0
	v_addc_co_u32_e32 v1, vcc, 0, v1, vcc
	v_cmp_le_i64_e32 vcc, s[6:7], v[0:1]
	s_or_b64 s[2:3], vcc, s[2:3]
	s_waitcnt vmcnt(0) lgkmcnt(0)
	v_mul_f32_e32 v6, v4, v6
	global_store_dword v[2:3], v6, off
	v_add_co_u32_e32 v2, vcc, s0, v2
	v_addc_co_u32_e32 v3, vcc, v3, v5, vcc
	s_andn2_b64 exec, exec, s[2:3]
	s_cbranch_execnz .LBB19_22
.LBB19_23:
	s_endpgm
.LBB19_24:
	v_pk_mov_b32 v[4:5], s[20:21], s[20:21] op_sel:[0,1]
	s_waitcnt vmcnt(0)
	flat_store_dword v[4:5], v2
	v_mov_b32_e32 v2, 1.0
	s_branch .LBB19_19
	.section	.rodata,"a",@progbits
	.p2align	6, 0x0
	.amdhsa_kernel _ZN9rocsolver6v33100L18larfg_kernel_smallILi1024EflfPKPfEEvT1_T3_llPT2_llS6_lS5_lPT0_l
		.amdhsa_group_segment_fixed_size 64
		.amdhsa_private_segment_fixed_size 0
		.amdhsa_kernarg_size 104
		.amdhsa_user_sgpr_count 6
		.amdhsa_user_sgpr_private_segment_buffer 1
		.amdhsa_user_sgpr_dispatch_ptr 0
		.amdhsa_user_sgpr_queue_ptr 0
		.amdhsa_user_sgpr_kernarg_segment_ptr 1
		.amdhsa_user_sgpr_dispatch_id 0
		.amdhsa_user_sgpr_flat_scratch_init 0
		.amdhsa_user_sgpr_kernarg_preload_length 0
		.amdhsa_user_sgpr_kernarg_preload_offset 0
		.amdhsa_user_sgpr_private_segment_size 0
		.amdhsa_uses_dynamic_stack 0
		.amdhsa_system_sgpr_private_segment_wavefront_offset 0
		.amdhsa_system_sgpr_workgroup_id_x 1
		.amdhsa_system_sgpr_workgroup_id_y 0
		.amdhsa_system_sgpr_workgroup_id_z 1
		.amdhsa_system_sgpr_workgroup_info 0
		.amdhsa_system_vgpr_workitem_id 0
		.amdhsa_next_free_vgpr 16
		.amdhsa_next_free_sgpr 32
		.amdhsa_accum_offset 16
		.amdhsa_reserve_vcc 1
		.amdhsa_reserve_flat_scratch 0
		.amdhsa_float_round_mode_32 0
		.amdhsa_float_round_mode_16_64 0
		.amdhsa_float_denorm_mode_32 3
		.amdhsa_float_denorm_mode_16_64 3
		.amdhsa_dx10_clamp 1
		.amdhsa_ieee_mode 1
		.amdhsa_fp16_overflow 0
		.amdhsa_tg_split 0
		.amdhsa_exception_fp_ieee_invalid_op 0
		.amdhsa_exception_fp_denorm_src 0
		.amdhsa_exception_fp_ieee_div_zero 0
		.amdhsa_exception_fp_ieee_overflow 0
		.amdhsa_exception_fp_ieee_underflow 0
		.amdhsa_exception_fp_ieee_inexact 0
		.amdhsa_exception_int_div_zero 0
	.end_amdhsa_kernel
	.section	.text._ZN9rocsolver6v33100L18larfg_kernel_smallILi1024EflfPKPfEEvT1_T3_llPT2_llS6_lS5_lPT0_l,"axG",@progbits,_ZN9rocsolver6v33100L18larfg_kernel_smallILi1024EflfPKPfEEvT1_T3_llPT2_llS6_lS5_lPT0_l,comdat
.Lfunc_end19:
	.size	_ZN9rocsolver6v33100L18larfg_kernel_smallILi1024EflfPKPfEEvT1_T3_llPT2_llS6_lS5_lPT0_l, .Lfunc_end19-_ZN9rocsolver6v33100L18larfg_kernel_smallILi1024EflfPKPfEEvT1_T3_llPT2_llS6_lS5_lPT0_l
                                        ; -- End function
	.section	.AMDGPU.csdata,"",@progbits
; Kernel info:
; codeLenInByte = 1540
; NumSgprs: 36
; NumVgprs: 16
; NumAgprs: 0
; TotalNumVgprs: 16
; ScratchSize: 0
; MemoryBound: 0
; FloatMode: 240
; IeeeMode: 1
; LDSByteSize: 64 bytes/workgroup (compile time only)
; SGPRBlocks: 4
; VGPRBlocks: 1
; NumSGPRsForWavesPerEU: 36
; NumVGPRsForWavesPerEU: 16
; AccumOffset: 16
; Occupancy: 8
; WaveLimiterHint : 1
; COMPUTE_PGM_RSRC2:SCRATCH_EN: 0
; COMPUTE_PGM_RSRC2:USER_SGPR: 6
; COMPUTE_PGM_RSRC2:TRAP_HANDLER: 0
; COMPUTE_PGM_RSRC2:TGID_X_EN: 1
; COMPUTE_PGM_RSRC2:TGID_Y_EN: 0
; COMPUTE_PGM_RSRC2:TGID_Z_EN: 1
; COMPUTE_PGM_RSRC2:TIDIG_COMP_CNT: 0
; COMPUTE_PGM_RSRC3_GFX90A:ACCUM_OFFSET: 3
; COMPUTE_PGM_RSRC3_GFX90A:TG_SPLIT: 0
	.text
	.p2alignl 6, 3212836864
	.fill 256, 4, 3212836864
	.type	__hip_cuid_14c3413759b0bbd4,@object ; @__hip_cuid_14c3413759b0bbd4
	.section	.bss,"aw",@nobits
	.globl	__hip_cuid_14c3413759b0bbd4
__hip_cuid_14c3413759b0bbd4:
	.byte	0                               ; 0x0
	.size	__hip_cuid_14c3413759b0bbd4, 1

	.ident	"AMD clang version 19.0.0git (https://github.com/RadeonOpenCompute/llvm-project roc-6.4.0 25133 c7fe45cf4b819c5991fe208aaa96edf142730f1d)"
	.section	".note.GNU-stack","",@progbits
	.addrsig
	.addrsig_sym __hip_cuid_14c3413759b0bbd4
	.amdgpu_metadata
---
amdhsa.kernels:
  - .agpr_count:     0
    .args:
      - .offset:         0
        .size:           4
        .value_kind:     by_value
      - .address_space:  global
        .offset:         8
        .size:           8
        .value_kind:     global_buffer
      - .offset:         16
        .size:           8
        .value_kind:     by_value
      - .offset:         24
        .size:           8
        .value_kind:     by_value
      - .address_space:  global
        .offset:         32
        .size:           8
        .value_kind:     global_buffer
      - .offset:         40
        .size:           8
        .value_kind:     by_value
      - .offset:         48
        .size:           8
        .value_kind:     by_value
      - .address_space:  global
        .offset:         56
        .size:           8
        .value_kind:     global_buffer
      - .offset:         64
        .size:           8
        .value_kind:     by_value
      - .offset:         72
        .size:           4
        .value_kind:     by_value
      - .offset:         80
        .size:           8
        .value_kind:     by_value
      - .address_space:  global
        .offset:         88
        .size:           8
        .value_kind:     global_buffer
      - .offset:         96
        .size:           8
        .value_kind:     by_value
    .group_segment_fixed_size: 4
    .kernarg_segment_align: 8
    .kernarg_segment_size: 104
    .language:       OpenCL C
    .language_version:
      - 2
      - 0
    .max_flat_workgroup_size: 64
    .name:           _ZN9rocsolver6v33100L18larfg_kernel_smallILi64EfifPfEEvT1_T3_llPT2_llS4_lS3_lPT0_l
    .private_segment_fixed_size: 0
    .sgpr_count:     31
    .sgpr_spill_count: 0
    .symbol:         _ZN9rocsolver6v33100L18larfg_kernel_smallILi64EfifPfEEvT1_T3_llPT2_llS4_lS3_lPT0_l.kd
    .uniform_work_group_size: 1
    .uses_dynamic_stack: false
    .vgpr_count:     16
    .vgpr_spill_count: 0
    .wavefront_size: 64
  - .agpr_count:     0
    .args:
      - .offset:         0
        .size:           4
        .value_kind:     by_value
      - .address_space:  global
        .offset:         8
        .size:           8
        .value_kind:     global_buffer
      - .offset:         16
        .size:           8
        .value_kind:     by_value
      - .offset:         24
        .size:           8
        .value_kind:     by_value
      - .address_space:  global
        .offset:         32
        .size:           8
        .value_kind:     global_buffer
      - .offset:         40
        .size:           8
        .value_kind:     by_value
      - .offset:         48
        .size:           8
        .value_kind:     by_value
      - .address_space:  global
        .offset:         56
        .size:           8
        .value_kind:     global_buffer
      - .offset:         64
        .size:           8
        .value_kind:     by_value
      - .offset:         72
        .size:           4
        .value_kind:     by_value
      - .offset:         80
        .size:           8
        .value_kind:     by_value
      - .address_space:  global
        .offset:         88
        .size:           8
        .value_kind:     global_buffer
      - .offset:         96
        .size:           8
        .value_kind:     by_value
    .group_segment_fixed_size: 8
    .kernarg_segment_align: 8
    .kernarg_segment_size: 104
    .language:       OpenCL C
    .language_version:
      - 2
      - 0
    .max_flat_workgroup_size: 128
    .name:           _ZN9rocsolver6v33100L18larfg_kernel_smallILi128EfifPfEEvT1_T3_llPT2_llS4_lS3_lPT0_l
    .private_segment_fixed_size: 0
    .sgpr_count:     31
    .sgpr_spill_count: 0
    .symbol:         _ZN9rocsolver6v33100L18larfg_kernel_smallILi128EfifPfEEvT1_T3_llPT2_llS4_lS3_lPT0_l.kd
    .uniform_work_group_size: 1
    .uses_dynamic_stack: false
    .vgpr_count:     16
    .vgpr_spill_count: 0
    .wavefront_size: 64
  - .agpr_count:     0
    .args:
      - .offset:         0
        .size:           4
        .value_kind:     by_value
      - .address_space:  global
        .offset:         8
        .size:           8
        .value_kind:     global_buffer
      - .offset:         16
        .size:           8
        .value_kind:     by_value
      - .offset:         24
        .size:           8
        .value_kind:     by_value
      - .address_space:  global
        .offset:         32
        .size:           8
        .value_kind:     global_buffer
      - .offset:         40
        .size:           8
        .value_kind:     by_value
      - .offset:         48
        .size:           8
        .value_kind:     by_value
      - .address_space:  global
        .offset:         56
        .size:           8
        .value_kind:     global_buffer
      - .offset:         64
        .size:           8
        .value_kind:     by_value
      - .offset:         72
        .size:           4
        .value_kind:     by_value
      - .offset:         80
        .size:           8
        .value_kind:     by_value
      - .address_space:  global
        .offset:         88
        .size:           8
        .value_kind:     global_buffer
      - .offset:         96
        .size:           8
        .value_kind:     by_value
    .group_segment_fixed_size: 16
    .kernarg_segment_align: 8
    .kernarg_segment_size: 104
    .language:       OpenCL C
    .language_version:
      - 2
      - 0
    .max_flat_workgroup_size: 256
    .name:           _ZN9rocsolver6v33100L18larfg_kernel_smallILi256EfifPfEEvT1_T3_llPT2_llS4_lS3_lPT0_l
    .private_segment_fixed_size: 0
    .sgpr_count:     31
    .sgpr_spill_count: 0
    .symbol:         _ZN9rocsolver6v33100L18larfg_kernel_smallILi256EfifPfEEvT1_T3_llPT2_llS4_lS3_lPT0_l.kd
    .uniform_work_group_size: 1
    .uses_dynamic_stack: false
    .vgpr_count:     16
    .vgpr_spill_count: 0
    .wavefront_size: 64
  - .agpr_count:     0
    .args:
      - .offset:         0
        .size:           4
        .value_kind:     by_value
      - .address_space:  global
        .offset:         8
        .size:           8
        .value_kind:     global_buffer
      - .offset:         16
        .size:           8
        .value_kind:     by_value
      - .offset:         24
        .size:           8
        .value_kind:     by_value
      - .address_space:  global
        .offset:         32
        .size:           8
        .value_kind:     global_buffer
      - .offset:         40
        .size:           8
        .value_kind:     by_value
      - .offset:         48
        .size:           8
        .value_kind:     by_value
      - .address_space:  global
        .offset:         56
        .size:           8
        .value_kind:     global_buffer
      - .offset:         64
        .size:           8
        .value_kind:     by_value
      - .offset:         72
        .size:           4
        .value_kind:     by_value
      - .offset:         80
        .size:           8
        .value_kind:     by_value
      - .address_space:  global
        .offset:         88
        .size:           8
        .value_kind:     global_buffer
      - .offset:         96
        .size:           8
        .value_kind:     by_value
    .group_segment_fixed_size: 32
    .kernarg_segment_align: 8
    .kernarg_segment_size: 104
    .language:       OpenCL C
    .language_version:
      - 2
      - 0
    .max_flat_workgroup_size: 512
    .name:           _ZN9rocsolver6v33100L18larfg_kernel_smallILi512EfifPfEEvT1_T3_llPT2_llS4_lS3_lPT0_l
    .private_segment_fixed_size: 0
    .sgpr_count:     31
    .sgpr_spill_count: 0
    .symbol:         _ZN9rocsolver6v33100L18larfg_kernel_smallILi512EfifPfEEvT1_T3_llPT2_llS4_lS3_lPT0_l.kd
    .uniform_work_group_size: 1
    .uses_dynamic_stack: false
    .vgpr_count:     16
    .vgpr_spill_count: 0
    .wavefront_size: 64
  - .agpr_count:     0
    .args:
      - .offset:         0
        .size:           4
        .value_kind:     by_value
      - .address_space:  global
        .offset:         8
        .size:           8
        .value_kind:     global_buffer
      - .offset:         16
        .size:           8
        .value_kind:     by_value
      - .offset:         24
        .size:           8
        .value_kind:     by_value
      - .address_space:  global
        .offset:         32
        .size:           8
        .value_kind:     global_buffer
      - .offset:         40
        .size:           8
        .value_kind:     by_value
      - .offset:         48
        .size:           8
        .value_kind:     by_value
      - .address_space:  global
        .offset:         56
        .size:           8
        .value_kind:     global_buffer
      - .offset:         64
        .size:           8
        .value_kind:     by_value
      - .offset:         72
        .size:           4
        .value_kind:     by_value
      - .offset:         80
        .size:           8
        .value_kind:     by_value
      - .address_space:  global
        .offset:         88
        .size:           8
        .value_kind:     global_buffer
      - .offset:         96
        .size:           8
        .value_kind:     by_value
    .group_segment_fixed_size: 64
    .kernarg_segment_align: 8
    .kernarg_segment_size: 104
    .language:       OpenCL C
    .language_version:
      - 2
      - 0
    .max_flat_workgroup_size: 1024
    .name:           _ZN9rocsolver6v33100L18larfg_kernel_smallILi1024EfifPfEEvT1_T3_llPT2_llS4_lS3_lPT0_l
    .private_segment_fixed_size: 0
    .sgpr_count:     31
    .sgpr_spill_count: 0
    .symbol:         _ZN9rocsolver6v33100L18larfg_kernel_smallILi1024EfifPfEEvT1_T3_llPT2_llS4_lS3_lPT0_l.kd
    .uniform_work_group_size: 1
    .uses_dynamic_stack: false
    .vgpr_count:     16
    .vgpr_spill_count: 0
    .wavefront_size: 64
  - .agpr_count:     0
    .args:
      - .offset:         0
        .size:           4
        .value_kind:     by_value
      - .address_space:  global
        .offset:         8
        .size:           8
        .value_kind:     global_buffer
      - .offset:         16
        .size:           8
        .value_kind:     by_value
      - .offset:         24
        .size:           8
        .value_kind:     by_value
      - .address_space:  global
        .offset:         32
        .size:           8
        .value_kind:     global_buffer
      - .offset:         40
        .size:           8
        .value_kind:     by_value
      - .offset:         48
        .size:           8
        .value_kind:     by_value
      - .address_space:  global
        .offset:         56
        .size:           8
        .value_kind:     global_buffer
      - .offset:         64
        .size:           8
        .value_kind:     by_value
      - .offset:         72
        .size:           4
        .value_kind:     by_value
      - .offset:         80
        .size:           8
        .value_kind:     by_value
      - .address_space:  global
        .offset:         88
        .size:           8
        .value_kind:     global_buffer
      - .offset:         96
        .size:           8
        .value_kind:     by_value
    .group_segment_fixed_size: 4
    .kernarg_segment_align: 8
    .kernarg_segment_size: 104
    .language:       OpenCL C
    .language_version:
      - 2
      - 0
    .max_flat_workgroup_size: 64
    .name:           _ZN9rocsolver6v33100L18larfg_kernel_smallILi64EfifPKPfEEvT1_T3_llPT2_llS6_lS5_lPT0_l
    .private_segment_fixed_size: 0
    .sgpr_count:     28
    .sgpr_spill_count: 0
    .symbol:         _ZN9rocsolver6v33100L18larfg_kernel_smallILi64EfifPKPfEEvT1_T3_llPT2_llS6_lS5_lPT0_l.kd
    .uniform_work_group_size: 1
    .uses_dynamic_stack: false
    .vgpr_count:     16
    .vgpr_spill_count: 0
    .wavefront_size: 64
  - .agpr_count:     0
    .args:
      - .offset:         0
        .size:           4
        .value_kind:     by_value
      - .address_space:  global
        .offset:         8
        .size:           8
        .value_kind:     global_buffer
      - .offset:         16
        .size:           8
        .value_kind:     by_value
      - .offset:         24
        .size:           8
        .value_kind:     by_value
      - .address_space:  global
        .offset:         32
        .size:           8
        .value_kind:     global_buffer
      - .offset:         40
        .size:           8
        .value_kind:     by_value
      - .offset:         48
        .size:           8
        .value_kind:     by_value
      - .address_space:  global
        .offset:         56
        .size:           8
        .value_kind:     global_buffer
      - .offset:         64
        .size:           8
        .value_kind:     by_value
      - .offset:         72
        .size:           4
        .value_kind:     by_value
      - .offset:         80
        .size:           8
        .value_kind:     by_value
      - .address_space:  global
        .offset:         88
        .size:           8
        .value_kind:     global_buffer
      - .offset:         96
        .size:           8
        .value_kind:     by_value
    .group_segment_fixed_size: 8
    .kernarg_segment_align: 8
    .kernarg_segment_size: 104
    .language:       OpenCL C
    .language_version:
      - 2
      - 0
    .max_flat_workgroup_size: 128
    .name:           _ZN9rocsolver6v33100L18larfg_kernel_smallILi128EfifPKPfEEvT1_T3_llPT2_llS6_lS5_lPT0_l
    .private_segment_fixed_size: 0
    .sgpr_count:     28
    .sgpr_spill_count: 0
    .symbol:         _ZN9rocsolver6v33100L18larfg_kernel_smallILi128EfifPKPfEEvT1_T3_llPT2_llS6_lS5_lPT0_l.kd
    .uniform_work_group_size: 1
    .uses_dynamic_stack: false
    .vgpr_count:     16
    .vgpr_spill_count: 0
    .wavefront_size: 64
  - .agpr_count:     0
    .args:
      - .offset:         0
        .size:           4
        .value_kind:     by_value
      - .address_space:  global
        .offset:         8
        .size:           8
        .value_kind:     global_buffer
      - .offset:         16
        .size:           8
        .value_kind:     by_value
      - .offset:         24
        .size:           8
        .value_kind:     by_value
      - .address_space:  global
        .offset:         32
        .size:           8
        .value_kind:     global_buffer
      - .offset:         40
        .size:           8
        .value_kind:     by_value
      - .offset:         48
        .size:           8
        .value_kind:     by_value
      - .address_space:  global
        .offset:         56
        .size:           8
        .value_kind:     global_buffer
      - .offset:         64
        .size:           8
        .value_kind:     by_value
      - .offset:         72
        .size:           4
        .value_kind:     by_value
      - .offset:         80
        .size:           8
        .value_kind:     by_value
      - .address_space:  global
        .offset:         88
        .size:           8
        .value_kind:     global_buffer
      - .offset:         96
        .size:           8
        .value_kind:     by_value
    .group_segment_fixed_size: 16
    .kernarg_segment_align: 8
    .kernarg_segment_size: 104
    .language:       OpenCL C
    .language_version:
      - 2
      - 0
    .max_flat_workgroup_size: 256
    .name:           _ZN9rocsolver6v33100L18larfg_kernel_smallILi256EfifPKPfEEvT1_T3_llPT2_llS6_lS5_lPT0_l
    .private_segment_fixed_size: 0
    .sgpr_count:     28
    .sgpr_spill_count: 0
    .symbol:         _ZN9rocsolver6v33100L18larfg_kernel_smallILi256EfifPKPfEEvT1_T3_llPT2_llS6_lS5_lPT0_l.kd
    .uniform_work_group_size: 1
    .uses_dynamic_stack: false
    .vgpr_count:     16
    .vgpr_spill_count: 0
    .wavefront_size: 64
  - .agpr_count:     0
    .args:
      - .offset:         0
        .size:           4
        .value_kind:     by_value
      - .address_space:  global
        .offset:         8
        .size:           8
        .value_kind:     global_buffer
      - .offset:         16
        .size:           8
        .value_kind:     by_value
      - .offset:         24
        .size:           8
        .value_kind:     by_value
      - .address_space:  global
        .offset:         32
        .size:           8
        .value_kind:     global_buffer
      - .offset:         40
        .size:           8
        .value_kind:     by_value
      - .offset:         48
        .size:           8
        .value_kind:     by_value
      - .address_space:  global
        .offset:         56
        .size:           8
        .value_kind:     global_buffer
      - .offset:         64
        .size:           8
        .value_kind:     by_value
      - .offset:         72
        .size:           4
        .value_kind:     by_value
      - .offset:         80
        .size:           8
        .value_kind:     by_value
      - .address_space:  global
        .offset:         88
        .size:           8
        .value_kind:     global_buffer
      - .offset:         96
        .size:           8
        .value_kind:     by_value
    .group_segment_fixed_size: 32
    .kernarg_segment_align: 8
    .kernarg_segment_size: 104
    .language:       OpenCL C
    .language_version:
      - 2
      - 0
    .max_flat_workgroup_size: 512
    .name:           _ZN9rocsolver6v33100L18larfg_kernel_smallILi512EfifPKPfEEvT1_T3_llPT2_llS6_lS5_lPT0_l
    .private_segment_fixed_size: 0
    .sgpr_count:     28
    .sgpr_spill_count: 0
    .symbol:         _ZN9rocsolver6v33100L18larfg_kernel_smallILi512EfifPKPfEEvT1_T3_llPT2_llS6_lS5_lPT0_l.kd
    .uniform_work_group_size: 1
    .uses_dynamic_stack: false
    .vgpr_count:     16
    .vgpr_spill_count: 0
    .wavefront_size: 64
  - .agpr_count:     0
    .args:
      - .offset:         0
        .size:           4
        .value_kind:     by_value
      - .address_space:  global
        .offset:         8
        .size:           8
        .value_kind:     global_buffer
      - .offset:         16
        .size:           8
        .value_kind:     by_value
      - .offset:         24
        .size:           8
        .value_kind:     by_value
      - .address_space:  global
        .offset:         32
        .size:           8
        .value_kind:     global_buffer
      - .offset:         40
        .size:           8
        .value_kind:     by_value
      - .offset:         48
        .size:           8
        .value_kind:     by_value
      - .address_space:  global
        .offset:         56
        .size:           8
        .value_kind:     global_buffer
      - .offset:         64
        .size:           8
        .value_kind:     by_value
      - .offset:         72
        .size:           4
        .value_kind:     by_value
      - .offset:         80
        .size:           8
        .value_kind:     by_value
      - .address_space:  global
        .offset:         88
        .size:           8
        .value_kind:     global_buffer
      - .offset:         96
        .size:           8
        .value_kind:     by_value
    .group_segment_fixed_size: 64
    .kernarg_segment_align: 8
    .kernarg_segment_size: 104
    .language:       OpenCL C
    .language_version:
      - 2
      - 0
    .max_flat_workgroup_size: 1024
    .name:           _ZN9rocsolver6v33100L18larfg_kernel_smallILi1024EfifPKPfEEvT1_T3_llPT2_llS6_lS5_lPT0_l
    .private_segment_fixed_size: 0
    .sgpr_count:     28
    .sgpr_spill_count: 0
    .symbol:         _ZN9rocsolver6v33100L18larfg_kernel_smallILi1024EfifPKPfEEvT1_T3_llPT2_llS6_lS5_lPT0_l.kd
    .uniform_work_group_size: 1
    .uses_dynamic_stack: false
    .vgpr_count:     16
    .vgpr_spill_count: 0
    .wavefront_size: 64
  - .agpr_count:     0
    .args:
      - .offset:         0
        .size:           8
        .value_kind:     by_value
      - .address_space:  global
        .offset:         8
        .size:           8
        .value_kind:     global_buffer
      - .offset:         16
        .size:           8
        .value_kind:     by_value
      - .offset:         24
        .size:           8
        .value_kind:     by_value
      - .address_space:  global
        .offset:         32
        .size:           8
        .value_kind:     global_buffer
      - .offset:         40
        .size:           8
        .value_kind:     by_value
      - .offset:         48
        .size:           8
        .value_kind:     by_value
      - .address_space:  global
        .offset:         56
        .size:           8
        .value_kind:     global_buffer
      - .offset:         64
        .size:           8
        .value_kind:     by_value
      - .offset:         72
        .size:           8
        .value_kind:     by_value
      - .offset:         80
        .size:           8
        .value_kind:     by_value
      - .address_space:  global
        .offset:         88
        .size:           8
        .value_kind:     global_buffer
      - .offset:         96
        .size:           8
        .value_kind:     by_value
    .group_segment_fixed_size: 4
    .kernarg_segment_align: 8
    .kernarg_segment_size: 104
    .language:       OpenCL C
    .language_version:
      - 2
      - 0
    .max_flat_workgroup_size: 64
    .name:           _ZN9rocsolver6v33100L18larfg_kernel_smallILi64EflfPfEEvT1_T3_llPT2_llS4_lS3_lPT0_l
    .private_segment_fixed_size: 0
    .sgpr_count:     40
    .sgpr_spill_count: 0
    .symbol:         _ZN9rocsolver6v33100L18larfg_kernel_smallILi64EflfPfEEvT1_T3_llPT2_llS4_lS3_lPT0_l.kd
    .uniform_work_group_size: 1
    .uses_dynamic_stack: false
    .vgpr_count:     16
    .vgpr_spill_count: 0
    .wavefront_size: 64
  - .agpr_count:     0
    .args:
      - .offset:         0
        .size:           8
        .value_kind:     by_value
      - .address_space:  global
        .offset:         8
        .size:           8
        .value_kind:     global_buffer
      - .offset:         16
        .size:           8
        .value_kind:     by_value
      - .offset:         24
        .size:           8
        .value_kind:     by_value
      - .address_space:  global
        .offset:         32
        .size:           8
        .value_kind:     global_buffer
      - .offset:         40
        .size:           8
        .value_kind:     by_value
      - .offset:         48
        .size:           8
        .value_kind:     by_value
      - .address_space:  global
        .offset:         56
        .size:           8
        .value_kind:     global_buffer
      - .offset:         64
        .size:           8
        .value_kind:     by_value
      - .offset:         72
        .size:           8
        .value_kind:     by_value
      - .offset:         80
        .size:           8
        .value_kind:     by_value
      - .address_space:  global
        .offset:         88
        .size:           8
        .value_kind:     global_buffer
      - .offset:         96
        .size:           8
        .value_kind:     by_value
    .group_segment_fixed_size: 8
    .kernarg_segment_align: 8
    .kernarg_segment_size: 104
    .language:       OpenCL C
    .language_version:
      - 2
      - 0
    .max_flat_workgroup_size: 128
    .name:           _ZN9rocsolver6v33100L18larfg_kernel_smallILi128EflfPfEEvT1_T3_llPT2_llS4_lS3_lPT0_l
    .private_segment_fixed_size: 0
    .sgpr_count:     41
    .sgpr_spill_count: 0
    .symbol:         _ZN9rocsolver6v33100L18larfg_kernel_smallILi128EflfPfEEvT1_T3_llPT2_llS4_lS3_lPT0_l.kd
    .uniform_work_group_size: 1
    .uses_dynamic_stack: false
    .vgpr_count:     16
    .vgpr_spill_count: 0
    .wavefront_size: 64
  - .agpr_count:     0
    .args:
      - .offset:         0
        .size:           8
        .value_kind:     by_value
      - .address_space:  global
        .offset:         8
        .size:           8
        .value_kind:     global_buffer
      - .offset:         16
        .size:           8
        .value_kind:     by_value
      - .offset:         24
        .size:           8
        .value_kind:     by_value
      - .address_space:  global
        .offset:         32
        .size:           8
        .value_kind:     global_buffer
      - .offset:         40
        .size:           8
        .value_kind:     by_value
      - .offset:         48
        .size:           8
        .value_kind:     by_value
      - .address_space:  global
        .offset:         56
        .size:           8
        .value_kind:     global_buffer
      - .offset:         64
        .size:           8
        .value_kind:     by_value
      - .offset:         72
        .size:           8
        .value_kind:     by_value
      - .offset:         80
        .size:           8
        .value_kind:     by_value
      - .address_space:  global
        .offset:         88
        .size:           8
        .value_kind:     global_buffer
      - .offset:         96
        .size:           8
        .value_kind:     by_value
    .group_segment_fixed_size: 16
    .kernarg_segment_align: 8
    .kernarg_segment_size: 104
    .language:       OpenCL C
    .language_version:
      - 2
      - 0
    .max_flat_workgroup_size: 256
    .name:           _ZN9rocsolver6v33100L18larfg_kernel_smallILi256EflfPfEEvT1_T3_llPT2_llS4_lS3_lPT0_l
    .private_segment_fixed_size: 0
    .sgpr_count:     41
    .sgpr_spill_count: 0
    .symbol:         _ZN9rocsolver6v33100L18larfg_kernel_smallILi256EflfPfEEvT1_T3_llPT2_llS4_lS3_lPT0_l.kd
    .uniform_work_group_size: 1
    .uses_dynamic_stack: false
    .vgpr_count:     16
    .vgpr_spill_count: 0
    .wavefront_size: 64
  - .agpr_count:     0
    .args:
      - .offset:         0
        .size:           8
        .value_kind:     by_value
      - .address_space:  global
        .offset:         8
        .size:           8
        .value_kind:     global_buffer
      - .offset:         16
        .size:           8
        .value_kind:     by_value
      - .offset:         24
        .size:           8
        .value_kind:     by_value
      - .address_space:  global
        .offset:         32
        .size:           8
        .value_kind:     global_buffer
      - .offset:         40
        .size:           8
        .value_kind:     by_value
      - .offset:         48
        .size:           8
        .value_kind:     by_value
      - .address_space:  global
        .offset:         56
        .size:           8
        .value_kind:     global_buffer
      - .offset:         64
        .size:           8
        .value_kind:     by_value
      - .offset:         72
        .size:           8
        .value_kind:     by_value
      - .offset:         80
        .size:           8
        .value_kind:     by_value
      - .address_space:  global
        .offset:         88
        .size:           8
        .value_kind:     global_buffer
      - .offset:         96
        .size:           8
        .value_kind:     by_value
    .group_segment_fixed_size: 32
    .kernarg_segment_align: 8
    .kernarg_segment_size: 104
    .language:       OpenCL C
    .language_version:
      - 2
      - 0
    .max_flat_workgroup_size: 512
    .name:           _ZN9rocsolver6v33100L18larfg_kernel_smallILi512EflfPfEEvT1_T3_llPT2_llS4_lS3_lPT0_l
    .private_segment_fixed_size: 0
    .sgpr_count:     41
    .sgpr_spill_count: 0
    .symbol:         _ZN9rocsolver6v33100L18larfg_kernel_smallILi512EflfPfEEvT1_T3_llPT2_llS4_lS3_lPT0_l.kd
    .uniform_work_group_size: 1
    .uses_dynamic_stack: false
    .vgpr_count:     16
    .vgpr_spill_count: 0
    .wavefront_size: 64
  - .agpr_count:     0
    .args:
      - .offset:         0
        .size:           8
        .value_kind:     by_value
      - .address_space:  global
        .offset:         8
        .size:           8
        .value_kind:     global_buffer
      - .offset:         16
        .size:           8
        .value_kind:     by_value
      - .offset:         24
        .size:           8
        .value_kind:     by_value
      - .address_space:  global
        .offset:         32
        .size:           8
        .value_kind:     global_buffer
      - .offset:         40
        .size:           8
        .value_kind:     by_value
      - .offset:         48
        .size:           8
        .value_kind:     by_value
      - .address_space:  global
        .offset:         56
        .size:           8
        .value_kind:     global_buffer
      - .offset:         64
        .size:           8
        .value_kind:     by_value
      - .offset:         72
        .size:           8
        .value_kind:     by_value
      - .offset:         80
        .size:           8
        .value_kind:     by_value
      - .address_space:  global
        .offset:         88
        .size:           8
        .value_kind:     global_buffer
      - .offset:         96
        .size:           8
        .value_kind:     by_value
    .group_segment_fixed_size: 64
    .kernarg_segment_align: 8
    .kernarg_segment_size: 104
    .language:       OpenCL C
    .language_version:
      - 2
      - 0
    .max_flat_workgroup_size: 1024
    .name:           _ZN9rocsolver6v33100L18larfg_kernel_smallILi1024EflfPfEEvT1_T3_llPT2_llS4_lS3_lPT0_l
    .private_segment_fixed_size: 0
    .sgpr_count:     41
    .sgpr_spill_count: 0
    .symbol:         _ZN9rocsolver6v33100L18larfg_kernel_smallILi1024EflfPfEEvT1_T3_llPT2_llS4_lS3_lPT0_l.kd
    .uniform_work_group_size: 1
    .uses_dynamic_stack: false
    .vgpr_count:     16
    .vgpr_spill_count: 0
    .wavefront_size: 64
  - .agpr_count:     0
    .args:
      - .offset:         0
        .size:           8
        .value_kind:     by_value
      - .address_space:  global
        .offset:         8
        .size:           8
        .value_kind:     global_buffer
      - .offset:         16
        .size:           8
        .value_kind:     by_value
      - .offset:         24
        .size:           8
        .value_kind:     by_value
      - .address_space:  global
        .offset:         32
        .size:           8
        .value_kind:     global_buffer
      - .offset:         40
        .size:           8
        .value_kind:     by_value
      - .offset:         48
        .size:           8
        .value_kind:     by_value
      - .address_space:  global
        .offset:         56
        .size:           8
        .value_kind:     global_buffer
      - .offset:         64
        .size:           8
        .value_kind:     by_value
      - .offset:         72
        .size:           8
        .value_kind:     by_value
      - .offset:         80
        .size:           8
        .value_kind:     by_value
      - .address_space:  global
        .offset:         88
        .size:           8
        .value_kind:     global_buffer
      - .offset:         96
        .size:           8
        .value_kind:     by_value
    .group_segment_fixed_size: 4
    .kernarg_segment_align: 8
    .kernarg_segment_size: 104
    .language:       OpenCL C
    .language_version:
      - 2
      - 0
    .max_flat_workgroup_size: 64
    .name:           _ZN9rocsolver6v33100L18larfg_kernel_smallILi64EflfPKPfEEvT1_T3_llPT2_llS6_lS5_lPT0_l
    .private_segment_fixed_size: 0
    .sgpr_count:     32
    .sgpr_spill_count: 0
    .symbol:         _ZN9rocsolver6v33100L18larfg_kernel_smallILi64EflfPKPfEEvT1_T3_llPT2_llS6_lS5_lPT0_l.kd
    .uniform_work_group_size: 1
    .uses_dynamic_stack: false
    .vgpr_count:     16
    .vgpr_spill_count: 0
    .wavefront_size: 64
  - .agpr_count:     0
    .args:
      - .offset:         0
        .size:           8
        .value_kind:     by_value
      - .address_space:  global
        .offset:         8
        .size:           8
        .value_kind:     global_buffer
      - .offset:         16
        .size:           8
        .value_kind:     by_value
      - .offset:         24
        .size:           8
        .value_kind:     by_value
      - .address_space:  global
        .offset:         32
        .size:           8
        .value_kind:     global_buffer
      - .offset:         40
        .size:           8
        .value_kind:     by_value
      - .offset:         48
        .size:           8
        .value_kind:     by_value
      - .address_space:  global
        .offset:         56
        .size:           8
        .value_kind:     global_buffer
      - .offset:         64
        .size:           8
        .value_kind:     by_value
      - .offset:         72
        .size:           8
        .value_kind:     by_value
      - .offset:         80
        .size:           8
        .value_kind:     by_value
      - .address_space:  global
        .offset:         88
        .size:           8
        .value_kind:     global_buffer
      - .offset:         96
        .size:           8
        .value_kind:     by_value
    .group_segment_fixed_size: 8
    .kernarg_segment_align: 8
    .kernarg_segment_size: 104
    .language:       OpenCL C
    .language_version:
      - 2
      - 0
    .max_flat_workgroup_size: 128
    .name:           _ZN9rocsolver6v33100L18larfg_kernel_smallILi128EflfPKPfEEvT1_T3_llPT2_llS6_lS5_lPT0_l
    .private_segment_fixed_size: 0
    .sgpr_count:     36
    .sgpr_spill_count: 0
    .symbol:         _ZN9rocsolver6v33100L18larfg_kernel_smallILi128EflfPKPfEEvT1_T3_llPT2_llS6_lS5_lPT0_l.kd
    .uniform_work_group_size: 1
    .uses_dynamic_stack: false
    .vgpr_count:     16
    .vgpr_spill_count: 0
    .wavefront_size: 64
  - .agpr_count:     0
    .args:
      - .offset:         0
        .size:           8
        .value_kind:     by_value
      - .address_space:  global
        .offset:         8
        .size:           8
        .value_kind:     global_buffer
      - .offset:         16
        .size:           8
        .value_kind:     by_value
      - .offset:         24
        .size:           8
        .value_kind:     by_value
      - .address_space:  global
        .offset:         32
        .size:           8
        .value_kind:     global_buffer
      - .offset:         40
        .size:           8
        .value_kind:     by_value
      - .offset:         48
        .size:           8
        .value_kind:     by_value
      - .address_space:  global
        .offset:         56
        .size:           8
        .value_kind:     global_buffer
      - .offset:         64
        .size:           8
        .value_kind:     by_value
      - .offset:         72
        .size:           8
        .value_kind:     by_value
      - .offset:         80
        .size:           8
        .value_kind:     by_value
      - .address_space:  global
        .offset:         88
        .size:           8
        .value_kind:     global_buffer
      - .offset:         96
        .size:           8
        .value_kind:     by_value
    .group_segment_fixed_size: 16
    .kernarg_segment_align: 8
    .kernarg_segment_size: 104
    .language:       OpenCL C
    .language_version:
      - 2
      - 0
    .max_flat_workgroup_size: 256
    .name:           _ZN9rocsolver6v33100L18larfg_kernel_smallILi256EflfPKPfEEvT1_T3_llPT2_llS6_lS5_lPT0_l
    .private_segment_fixed_size: 0
    .sgpr_count:     36
    .sgpr_spill_count: 0
    .symbol:         _ZN9rocsolver6v33100L18larfg_kernel_smallILi256EflfPKPfEEvT1_T3_llPT2_llS6_lS5_lPT0_l.kd
    .uniform_work_group_size: 1
    .uses_dynamic_stack: false
    .vgpr_count:     16
    .vgpr_spill_count: 0
    .wavefront_size: 64
  - .agpr_count:     0
    .args:
      - .offset:         0
        .size:           8
        .value_kind:     by_value
      - .address_space:  global
        .offset:         8
        .size:           8
        .value_kind:     global_buffer
      - .offset:         16
        .size:           8
        .value_kind:     by_value
      - .offset:         24
        .size:           8
        .value_kind:     by_value
      - .address_space:  global
        .offset:         32
        .size:           8
        .value_kind:     global_buffer
      - .offset:         40
        .size:           8
        .value_kind:     by_value
      - .offset:         48
        .size:           8
        .value_kind:     by_value
      - .address_space:  global
        .offset:         56
        .size:           8
        .value_kind:     global_buffer
      - .offset:         64
        .size:           8
        .value_kind:     by_value
      - .offset:         72
        .size:           8
        .value_kind:     by_value
      - .offset:         80
        .size:           8
        .value_kind:     by_value
      - .address_space:  global
        .offset:         88
        .size:           8
        .value_kind:     global_buffer
      - .offset:         96
        .size:           8
        .value_kind:     by_value
    .group_segment_fixed_size: 32
    .kernarg_segment_align: 8
    .kernarg_segment_size: 104
    .language:       OpenCL C
    .language_version:
      - 2
      - 0
    .max_flat_workgroup_size: 512
    .name:           _ZN9rocsolver6v33100L18larfg_kernel_smallILi512EflfPKPfEEvT1_T3_llPT2_llS6_lS5_lPT0_l
    .private_segment_fixed_size: 0
    .sgpr_count:     36
    .sgpr_spill_count: 0
    .symbol:         _ZN9rocsolver6v33100L18larfg_kernel_smallILi512EflfPKPfEEvT1_T3_llPT2_llS6_lS5_lPT0_l.kd
    .uniform_work_group_size: 1
    .uses_dynamic_stack: false
    .vgpr_count:     16
    .vgpr_spill_count: 0
    .wavefront_size: 64
  - .agpr_count:     0
    .args:
      - .offset:         0
        .size:           8
        .value_kind:     by_value
      - .address_space:  global
        .offset:         8
        .size:           8
        .value_kind:     global_buffer
      - .offset:         16
        .size:           8
        .value_kind:     by_value
      - .offset:         24
        .size:           8
        .value_kind:     by_value
      - .address_space:  global
        .offset:         32
        .size:           8
        .value_kind:     global_buffer
      - .offset:         40
        .size:           8
        .value_kind:     by_value
      - .offset:         48
        .size:           8
        .value_kind:     by_value
      - .address_space:  global
        .offset:         56
        .size:           8
        .value_kind:     global_buffer
      - .offset:         64
        .size:           8
        .value_kind:     by_value
      - .offset:         72
        .size:           8
        .value_kind:     by_value
      - .offset:         80
        .size:           8
        .value_kind:     by_value
      - .address_space:  global
        .offset:         88
        .size:           8
        .value_kind:     global_buffer
      - .offset:         96
        .size:           8
        .value_kind:     by_value
    .group_segment_fixed_size: 64
    .kernarg_segment_align: 8
    .kernarg_segment_size: 104
    .language:       OpenCL C
    .language_version:
      - 2
      - 0
    .max_flat_workgroup_size: 1024
    .name:           _ZN9rocsolver6v33100L18larfg_kernel_smallILi1024EflfPKPfEEvT1_T3_llPT2_llS6_lS5_lPT0_l
    .private_segment_fixed_size: 0
    .sgpr_count:     36
    .sgpr_spill_count: 0
    .symbol:         _ZN9rocsolver6v33100L18larfg_kernel_smallILi1024EflfPKPfEEvT1_T3_llPT2_llS6_lS5_lPT0_l.kd
    .uniform_work_group_size: 1
    .uses_dynamic_stack: false
    .vgpr_count:     16
    .vgpr_spill_count: 0
    .wavefront_size: 64
amdhsa.target:   amdgcn-amd-amdhsa--gfx90a
amdhsa.version:
  - 1
  - 2
...

	.end_amdgpu_metadata
